;; amdgpu-corpus repo=ROCm/rocFFT kind=compiled arch=gfx1201 opt=O3
	.text
	.amdgcn_target "amdgcn-amd-amdhsa--gfx1201"
	.amdhsa_code_object_version 6
	.protected	bluestein_single_fwd_len4096_dim1_dp_op_CI_CI ; -- Begin function bluestein_single_fwd_len4096_dim1_dp_op_CI_CI
	.globl	bluestein_single_fwd_len4096_dim1_dp_op_CI_CI
	.p2align	8
	.type	bluestein_single_fwd_len4096_dim1_dp_op_CI_CI,@function
bluestein_single_fwd_len4096_dim1_dp_op_CI_CI: ; @bluestein_single_fwd_len4096_dim1_dp_op_CI_CI
; %bb.0:
	s_load_b128 s[16:19], s[0:1], 0x28
	v_mov_b32_e32 v185, v0
	s_mov_b32 s2, ttmp9
	s_mov_b32 s3, 0
	s_mov_b32 s5, exec_lo
	s_wait_kmcnt 0x0
	v_cmpx_lt_u64_e64 s[2:3], s[16:17]
	s_cbranch_execz .LBB0_2
; %bb.1:
	s_clause 0x1
	s_load_b128 s[4:7], s[0:1], 0x18
	s_load_b128 s[8:11], s[0:1], 0x0
	v_dual_mov_b32 v0, s2 :: v_dual_mov_b32 v1, s3
	v_lshlrev_b32_e32 v186, 4, v185
	s_mov_b32 s16, 0xcf328d46
	s_mov_b32 s17, 0xbfed906b
	;; [unrolled: 1-line block ×3, first 2 shown]
	scratch_store_b64 off, v[0:1], off      ; 8-byte Folded Spill
	s_wait_alu 0xfffe
	s_mov_b32 s20, s16
	s_load_b64 s[0:1], s[0:1], 0x38
	s_wait_kmcnt 0x0
	s_load_b128 s[12:15], s[4:5], 0x0
	s_wait_kmcnt 0x0
	v_mad_co_u64_u32 v[1:2], null, s14, v0, 0
	v_mad_co_u64_u32 v[3:4], null, s12, v185, 0
	s_lshl_b64 s[2:3], s[12:13], 12
	s_delay_alu instid0(VALU_DEP_1) | instskip(SKIP_2) | instid1(VALU_DEP_1)
	v_mad_co_u64_u32 v[5:6], null, s15, v0, v[2:3]
	s_mov_b32 s14, 0xa6aea964
	s_mov_b32 s15, 0xbfd87de2
	v_mad_co_u64_u32 v[6:7], null, s13, v185, v[4:5]
	v_mov_b32_e32 v2, v5
	s_mov_b32 s13, 0x3fe6a09e
	s_delay_alu instid0(VALU_DEP_1) | instskip(NEXT) | instid1(VALU_DEP_3)
	v_lshlrev_b64_e32 v[1:2], 4, v[1:2]
	v_mov_b32_e32 v4, v6
	s_delay_alu instid0(VALU_DEP_2) | instskip(NEXT) | instid1(VALU_DEP_2)
	v_add_co_u32 v0, vcc_lo, s18, v1
	v_lshlrev_b64_e32 v[3:4], 4, v[3:4]
	s_delay_alu instid0(VALU_DEP_4) | instskip(SKIP_3) | instid1(VALU_DEP_2)
	v_add_co_ci_u32_e32 v2, vcc_lo, s19, v2, vcc_lo
	s_mov_b32 s19, 0x3fd87de2
	s_wait_alu 0xfffe
	s_mov_b32 s18, s14
	v_add_co_u32 v1, vcc_lo, v0, v3
	s_wait_alu 0xfffd
	v_add_co_ci_u32_e32 v2, vcc_lo, v2, v4, vcc_lo
	global_load_b128 v[7:10], v186, s[8:9]
	global_load_b128 v[13:16], v[1:2], off
	v_add_co_u32 v1, vcc_lo, v1, s2
	s_wait_alu 0xfffd
	v_add_co_ci_u32_e32 v2, vcc_lo, s3, v2, vcc_lo
	global_load_b128 v[25:28], v186, s[8:9] offset:4096
	global_load_b128 v[17:20], v[1:2], off
	v_add_co_u32 v1, vcc_lo, v1, s2
	s_wait_alu 0xfffd
	v_add_co_ci_u32_e32 v2, vcc_lo, s3, v2, vcc_lo
	global_load_b128 v[29:32], v186, s[8:9] offset:8192
	global_load_b128 v[21:24], v[1:2], off
	v_add_co_u32 v1, vcc_lo, v1, s2
	s_wait_alu 0xfffd
	v_add_co_ci_u32_e32 v2, vcc_lo, s3, v2, vcc_lo
	v_and_b32_e32 v0, 15, v185
	s_wait_loadcnt 0x5
	scratch_store_b128 off, v[7:10], off offset:136 ; 16-byte Folded Spill
	s_wait_loadcnt 0x4
	v_mul_f64_e32 v[3:4], v[15:16], v[9:10]
	v_mul_f64_e32 v[5:6], v[13:14], v[9:10]
	s_wait_loadcnt 0x3
	scratch_store_b128 off, v[25:28], off offset:8 ; 16-byte Folded Spill
	s_wait_loadcnt 0x1
	scratch_store_b128 off, v[29:32], off offset:24 ; 16-byte Folded Spill
	v_fma_f64 v[65:66], v[13:14], v[7:8], v[3:4]
	v_fma_f64 v[67:68], v[15:16], v[7:8], -v[5:6]
	v_mul_f64_e32 v[3:4], v[19:20], v[27:28]
	v_mul_f64_e32 v[5:6], v[17:18], v[27:28]
	global_load_b128 v[7:10], v186, s[8:9] offset:12288
	v_fma_f64 v[69:70], v[17:18], v[25:26], v[3:4]
	v_fma_f64 v[71:72], v[19:20], v[25:26], -v[5:6]
	global_load_b128 v[17:20], v[1:2], off
	s_wait_loadcnt 0x2
	v_mul_f64_e32 v[3:4], v[23:24], v[31:32]
	v_mul_f64_e32 v[5:6], v[21:22], v[31:32]
	v_add_co_u32 v1, vcc_lo, v1, s2
	s_wait_alu 0xfffd
	v_add_co_ci_u32_e32 v2, vcc_lo, s3, v2, vcc_lo
	s_delay_alu instid0(VALU_DEP_4) | instskip(NEXT) | instid1(VALU_DEP_4)
	v_fma_f64 v[73:74], v[21:22], v[29:30], v[3:4]
	v_fma_f64 v[75:76], v[23:24], v[29:30], -v[5:6]
	global_load_b128 v[21:24], v[1:2], off
	v_add_co_u32 v1, vcc_lo, v1, s2
	s_wait_alu 0xfffd
	v_add_co_ci_u32_e32 v2, vcc_lo, s3, v2, vcc_lo
	global_load_b128 v[25:28], v[1:2], off
	v_add_co_u32 v1, vcc_lo, v1, s2
	s_wait_alu 0xfffd
	v_add_co_ci_u32_e32 v2, vcc_lo, s3, v2, vcc_lo
	;; [unrolled: 4-line block ×5, first 2 shown]
	s_wait_loadcnt 0x6
	scratch_store_b128 off, v[7:10], off offset:40 ; 16-byte Folded Spill
	s_wait_loadcnt 0x5
	v_mul_f64_e32 v[3:4], v[19:20], v[9:10]
	v_mul_f64_e32 v[5:6], v[17:18], v[9:10]
	s_delay_alu instid0(VALU_DEP_2) | instskip(NEXT) | instid1(VALU_DEP_2)
	v_fma_f64 v[77:78], v[17:18], v[7:8], v[3:4]
	v_fma_f64 v[79:80], v[19:20], v[7:8], -v[5:6]
	global_load_b128 v[7:10], v186, s[8:9] offset:16384
	s_wait_loadcnt 0x0
	v_mul_f64_e32 v[3:4], v[23:24], v[9:10]
	v_mul_f64_e32 v[5:6], v[21:22], v[9:10]
	scratch_store_b128 off, v[7:10], off offset:56 ; 16-byte Folded Spill
	v_fma_f64 v[81:82], v[21:22], v[7:8], v[3:4]
	v_fma_f64 v[83:84], v[23:24], v[7:8], -v[5:6]
	global_load_b128 v[7:10], v186, s[8:9] offset:20480
	v_lshlrev_b32_e32 v21, 8, v185
	s_wait_loadcnt 0x0
	v_mul_f64_e32 v[3:4], v[27:28], v[9:10]
	v_mul_f64_e32 v[5:6], v[25:26], v[9:10]
	scratch_store_b128 off, v[7:10], off offset:72 ; 16-byte Folded Spill
	v_fma_f64 v[85:86], v[25:26], v[7:8], v[3:4]
	v_fma_f64 v[87:88], v[27:28], v[7:8], -v[5:6]
	global_load_b128 v[7:10], v186, s[8:9] offset:24576
	s_wait_loadcnt 0x0
	v_mul_f64_e32 v[3:4], v[31:32], v[9:10]
	v_mul_f64_e32 v[5:6], v[29:30], v[9:10]
	scratch_store_b128 off, v[7:10], off offset:88 ; 16-byte Folded Spill
	v_fma_f64 v[89:90], v[29:30], v[7:8], v[3:4]
	v_fma_f64 v[91:92], v[31:32], v[7:8], -v[5:6]
	global_load_b128 v[7:10], v186, s[8:9] offset:28672
	;; [unrolled: 7-line block ×4, first 2 shown]
	global_load_b128 v[41:44], v[1:2], off
	v_add_co_u32 v1, vcc_lo, v1, s2
	s_wait_alu 0xfffd
	v_add_co_ci_u32_e32 v2, vcc_lo, s3, v2, vcc_lo
	s_wait_loadcnt 0x0
	v_mul_f64_e32 v[3:4], v[43:44], v[39:40]
	v_mul_f64_e32 v[5:6], v[41:42], v[39:40]
	s_delay_alu instid0(VALU_DEP_2) | instskip(NEXT) | instid1(VALU_DEP_2)
	v_fma_f64 v[101:102], v[41:42], v[37:38], v[3:4]
	v_fma_f64 v[103:104], v[43:44], v[37:38], -v[5:6]
	global_load_b128 v[41:44], v186, s[8:9] offset:40960
	global_load_b128 v[45:48], v[1:2], off
	v_add_co_u32 v1, vcc_lo, v1, s2
	s_wait_alu 0xfffd
	v_add_co_ci_u32_e32 v2, vcc_lo, s3, v2, vcc_lo
	s_wait_loadcnt 0x0
	v_mul_f64_e32 v[3:4], v[47:48], v[43:44]
	v_mul_f64_e32 v[5:6], v[45:46], v[43:44]
	s_delay_alu instid0(VALU_DEP_2) | instskip(NEXT) | instid1(VALU_DEP_2)
	v_fma_f64 v[105:106], v[45:46], v[41:42], v[3:4]
	v_fma_f64 v[107:108], v[47:48], v[41:42], -v[5:6]
	global_load_b128 v[45:48], v186, s[8:9] offset:45056
	;; [unrolled: 11-line block ×5, first 2 shown]
	global_load_b128 v[61:64], v[1:2], off
	v_add_co_u32 v1, vcc_lo, v1, s2
	s_wait_alu 0xfffd
	v_add_co_ci_u32_e32 v2, vcc_lo, s3, v2, vcc_lo
	s_mov_b32 s2, 0x667f3bcd
	s_mov_b32 s3, 0xbfe6a09e
	s_wait_alu 0xfffe
	s_mov_b32 s12, s2
	s_wait_loadcnt 0x0
	v_mul_f64_e32 v[3:4], v[63:64], v[59:60]
	v_mul_f64_e32 v[5:6], v[61:62], v[59:60]
	s_delay_alu instid0(VALU_DEP_2) | instskip(NEXT) | instid1(VALU_DEP_2)
	v_fma_f64 v[121:122], v[61:62], v[57:58], v[3:4]
	v_fma_f64 v[123:124], v[63:64], v[57:58], -v[5:6]
	global_load_b128 v[125:128], v[1:2], off
	global_load_b128 v[61:64], v186, s[8:9] offset:61440
	s_wait_loadcnt 0x0
	v_mul_f64_e32 v[1:2], v[127:128], v[63:64]
	v_mul_f64_e32 v[3:4], v[125:126], v[63:64]
	s_delay_alu instid0(VALU_DEP_2) | instskip(NEXT) | instid1(VALU_DEP_2)
	v_fma_f64 v[125:126], v[125:126], v[61:62], v[1:2]
	v_fma_f64 v[127:128], v[127:128], v[61:62], -v[3:4]
	ds_store_b128 v186, v[65:68]
	ds_store_b128 v186, v[69:72] offset:4096
	ds_store_b128 v186, v[73:76] offset:8192
	;; [unrolled: 1-line block ×15, first 2 shown]
	s_load_b128 s[4:7], s[6:7], 0x0
	global_wb scope:SCOPE_SE
	s_wait_storecnt_dscnt 0x0
	s_wait_kmcnt 0x0
	s_barrier_signal -1
	s_barrier_wait -1
	global_inv scope:SCOPE_SE
	ds_load_b128 v[65:68], v186 offset:32768
	ds_load_b128 v[81:84], v186
	ds_load_b128 v[85:88], v186 offset:16384
	ds_load_b128 v[69:72], v186 offset:49152
	s_wait_dscnt 0x2
	v_add_f64_e64 v[67:68], v[83:84], -v[67:68]
	s_wait_dscnt 0x0
	v_add_f64_e64 v[1:2], v[85:86], -v[69:70]
	v_add_f64_e64 v[3:4], v[87:88], -v[71:72]
	ds_load_b128 v[89:92], v186 offset:8192
	ds_load_b128 v[69:72], v186 offset:40960
	;; [unrolled: 1-line block ×4, first 2 shown]
	v_add_f64_e64 v[65:66], v[81:82], -v[65:66]
	s_wait_dscnt 0x2
	v_add_f64_e64 v[69:70], v[89:90], -v[69:70]
	s_wait_dscnt 0x0
	v_add_f64_e64 v[7:8], v[95:96], -v[75:76]
	ds_load_b128 v[97:100], v186 offset:4096
	ds_load_b128 v[75:78], v186 offset:36864
	v_add_f64_e64 v[5:6], v[93:94], -v[73:74]
	v_add_f64_e64 v[71:72], v[91:92], -v[71:72]
	v_fma_f64 v[83:84], v[83:84], 2.0, -v[67:68]
	v_fma_f64 v[17:18], v[85:86], 2.0, -v[1:2]
	;; [unrolled: 1-line block ×3, first 2 shown]
	v_add_f64_e32 v[1:2], v[67:68], v[1:2]
	v_fma_f64 v[81:82], v[81:82], 2.0, -v[65:66]
	v_add_f64_e64 v[3:4], v[65:66], -v[3:4]
	s_wait_dscnt 0x0
	v_add_f64_e64 v[73:74], v[99:100], -v[77:78]
	ds_load_b128 v[101:104], v186 offset:20480
	ds_load_b128 v[77:80], v186 offset:53248
	;; [unrolled: 1-line block ×4, first 2 shown]
	v_add_f64_e64 v[75:76], v[97:98], -v[75:76]
	v_fma_f64 v[85:86], v[89:90], 2.0, -v[69:70]
	v_fma_f64 v[87:88], v[91:92], 2.0, -v[71:72]
	s_wait_dscnt 0x2
	v_add_f64_e64 v[9:10], v[101:102], -v[77:78]
	v_add_f64_e64 v[11:12], v[103:104], -v[79:80]
	s_wait_dscnt 0x0
	v_add_f64_e64 v[79:80], v[105:106], -v[109:110]
	v_add_f64_e64 v[77:78], v[107:108], -v[111:112]
	ds_load_b128 v[109:112], v186 offset:28672
	ds_load_b128 v[113:116], v186 offset:61440
	global_wb scope:SCOPE_SE
	s_wait_dscnt 0x0
	s_barrier_signal -1
	s_barrier_wait -1
	global_inv scope:SCOPE_SE
	v_fma_f64 v[91:92], v[99:100], 2.0, -v[73:74]
	v_add_f64_e64 v[99:100], v[83:84], -v[19:20]
	v_fma_f64 v[89:90], v[97:98], 2.0, -v[75:76]
	v_add_f64_e64 v[97:98], v[81:82], -v[17:18]
	v_add_f64_e64 v[15:16], v[109:110], -v[113:114]
	;; [unrolled: 1-line block ×3, first 2 shown]
	v_fma_f64 v[113:114], v[93:94], 2.0, -v[5:6]
	v_fma_f64 v[115:116], v[95:96], 2.0, -v[7:8]
	v_add_f64_e64 v[7:8], v[69:70], -v[7:8]
	v_add_f64_e32 v[5:6], v[71:72], v[5:6]
	v_fma_f64 v[117:118], v[101:102], 2.0, -v[9:10]
	v_fma_f64 v[119:120], v[103:104], 2.0, -v[11:12]
	;; [unrolled: 1-line block ×4, first 2 shown]
	v_add_f64_e64 v[11:12], v[75:76], -v[11:12]
	v_add_f64_e32 v[9:10], v[73:74], v[9:10]
	v_fma_f64 v[109:110], v[109:110], 2.0, -v[15:16]
	v_fma_f64 v[111:112], v[111:112], 2.0, -v[13:14]
	v_add_f64_e64 v[101:102], v[85:86], -v[113:114]
	v_add_f64_e64 v[103:104], v[87:88], -v[115:116]
	;; [unrolled: 1-line block ×3, first 2 shown]
	v_add_f64_e32 v[15:16], v[77:78], v[15:16]
	v_add_f64_e64 v[105:106], v[89:90], -v[117:118]
	v_add_f64_e64 v[107:108], v[91:92], -v[119:120]
	v_add_f64_e64 v[109:110], v[93:94], -v[109:110]
	v_add_f64_e64 v[111:112], v[95:96], -v[111:112]
	v_add_f64_e32 v[19:20], v[99:100], v[101:102]
	v_add_f64_e64 v[17:18], v[97:98], -v[103:104]
	v_fma_f64 v[89:90], v[89:90], 2.0, -v[105:106]
	v_fma_f64 v[91:92], v[91:92], 2.0, -v[107:108]
	v_add_f64_e32 v[119:120], v[107:108], v[109:110]
	v_add_f64_e64 v[117:118], v[105:106], -v[111:112]
	v_fma_f64 v[135:136], v[99:100], 2.0, -v[19:20]
	v_fma_f64 v[133:134], v[97:98], 2.0, -v[17:18]
	s_delay_alu instid0(VALU_DEP_4) | instskip(NEXT) | instid1(VALU_DEP_4)
	v_fma_f64 v[115:116], v[119:120], s[12:13], v[19:20]
	v_fma_f64 v[113:114], v[117:118], s[12:13], v[17:18]
	v_fma_f64 v[121:122], v[105:106], 2.0, -v[117:118]
	s_delay_alu instid0(VALU_DEP_3) | instskip(SKIP_1) | instid1(VALU_DEP_4)
	v_fma_f64 v[115:116], v[117:118], s[12:13], v[115:116]
	v_fma_f64 v[117:118], v[107:108], 2.0, -v[119:120]
	v_fma_f64 v[113:114], v[119:120], s[2:3], v[113:114]
	s_delay_alu instid0(VALU_DEP_4) | instskip(NEXT) | instid1(VALU_DEP_3)
	v_fma_f64 v[119:120], v[121:122], s[2:3], v[133:134]
	v_fma_f64 v[123:124], v[117:118], s[2:3], v[135:136]
	s_delay_alu instid0(VALU_DEP_2) | instskip(NEXT) | instid1(VALU_DEP_2)
	v_fma_f64 v[117:118], v[117:118], s[2:3], v[119:120]
	v_fma_f64 v[119:120], v[121:122], s[12:13], v[123:124]
	;; [unrolled: 1-line block ×3, first 2 shown]
	s_delay_alu instid0(VALU_DEP_1) | instskip(SKIP_2) | instid1(VALU_DEP_3)
	v_fma_f64 v[137:138], v[5:6], s[2:3], v[121:122]
	v_fma_f64 v[121:122], v[5:6], s[12:13], v[1:2]
	v_fma_f64 v[5:6], v[71:72], 2.0, -v[5:6]
	v_fma_f64 v[141:142], v[3:4], 2.0, -v[137:138]
	s_delay_alu instid0(VALU_DEP_3) | instskip(SKIP_3) | instid1(VALU_DEP_4)
	v_fma_f64 v[139:140], v[7:8], s[12:13], v[121:122]
	v_fma_f64 v[121:122], v[13:14], s[12:13], v[11:12]
	v_fma_f64 v[3:4], v[65:66], 2.0, -v[3:4]
	v_fma_f64 v[7:8], v[69:70], 2.0, -v[7:8]
	;; [unrolled: 1-line block ×3, first 2 shown]
	s_delay_alu instid0(VALU_DEP_4) | instskip(SKIP_3) | instid1(VALU_DEP_4)
	v_fma_f64 v[125:126], v[15:16], s[2:3], v[121:122]
	v_fma_f64 v[121:122], v[15:16], s[12:13], v[9:10]
	v_fma_f64 v[15:16], v[77:78], 2.0, -v[15:16]
	v_fma_f64 v[1:2], v[67:68], 2.0, -v[1:2]
	;; [unrolled: 1-line block ×3, first 2 shown]
	s_delay_alu instid0(VALU_DEP_4)
	v_fma_f64 v[127:128], v[13:14], s[12:13], v[121:122]
	v_fma_f64 v[11:12], v[75:76], 2.0, -v[11:12]
	v_fma_f64 v[13:14], v[79:80], 2.0, -v[13:14]
	v_fma_f64 v[121:122], v[125:126], s[20:21], v[137:138]
	v_fma_f64 v[75:76], v[135:136], 2.0, -v[119:120]
	v_fma_f64 v[123:124], v[127:128], s[20:21], v[139:140]
	s_delay_alu instid0(VALU_DEP_4) | instskip(NEXT) | instid1(VALU_DEP_4)
	v_fma_f64 v[65:66], v[13:14], s[2:3], v[11:12]
	v_fma_f64 v[121:122], v[127:128], s[14:15], v[121:122]
	s_delay_alu instid0(VALU_DEP_3)
	v_fma_f64 v[123:124], v[125:126], s[18:19], v[123:124]
	v_fma_f64 v[125:126], v[9:10], 2.0, -v[127:128]
	v_fma_f64 v[9:10], v[73:74], 2.0, -v[9:10]
	v_fma_f64 v[65:66], v[15:16], s[2:3], v[65:66]
	v_fma_f64 v[127:128], v[129:130], s[14:15], v[141:142]
	v_fma_f64 v[73:74], v[133:134], 2.0, -v[117:118]
	ds_store_b128 v21, v[121:124] offset:240
	v_fma_f64 v[131:132], v[125:126], s[14:15], v[143:144]
	v_fma_f64 v[15:16], v[15:16], s[2:3], v[9:10]
	;; [unrolled: 1-line block ×3, first 2 shown]
	s_delay_alu instid0(VALU_DEP_3) | instskip(NEXT) | instid1(VALU_DEP_3)
	v_fma_f64 v[127:128], v[129:130], s[20:21], v[131:132]
	v_fma_f64 v[13:14], v[13:14], s[12:13], v[15:16]
	;; [unrolled: 1-line block ×3, first 2 shown]
	v_fma_f64 v[129:130], v[17:18], 2.0, -v[113:114]
	v_fma_f64 v[131:132], v[19:20], 2.0, -v[115:116]
	;; [unrolled: 1-line block ×11, first 2 shown]
	v_fma_f64 v[15:16], v[7:8], s[12:13], v[15:16]
	v_fma_f64 v[7:8], v[7:8], s[2:3], v[3:4]
	v_add_f64_e64 v[93:94], v[17:18], -v[81:82]
	v_add_f64_e64 v[95:96], v[19:20], -v[83:84]
	;; [unrolled: 1-line block ×4, first 2 shown]
	v_fma_f64 v[1:2], v[1:2], 2.0, -v[15:16]
	v_fma_f64 v[5:6], v[5:6], s[2:3], v[7:8]
	v_fma_f64 v[7:8], v[11:12], 2.0, -v[65:66]
	v_fma_f64 v[11:12], v[13:14], s[18:19], v[15:16]
	v_add_f64_e64 v[81:82], v[93:94], -v[97:98]
	v_add_f64_e32 v[83:84], v[95:96], v[99:100]
	ds_store_b128 v21, v[113:116] offset:224
	v_fma_f64 v[113:114], v[137:138], 2.0, -v[121:122]
	v_fma_f64 v[115:116], v[139:140], 2.0, -v[123:124]
	v_fma_f64 v[69:70], v[65:66], s[18:19], v[5:6]
	v_fma_f64 v[3:4], v[3:4], 2.0, -v[5:6]
	v_fma_f64 v[67:68], v[65:66], s[20:21], v[11:12]
	v_fma_f64 v[85:86], v[93:94], 2.0, -v[81:82]
	ds_store_b128 v21, v[81:84] offset:192
	v_fma_f64 v[87:88], v[95:96], 2.0, -v[83:84]
	ds_store_b128 v21, v[129:132] offset:96
	ds_store_b128 v21, v[113:116] offset:112
	ds_store_b128 v21, v[117:120] offset:160
	ds_store_b128 v21, v[125:128] offset:176
	v_fma_f64 v[65:66], v[13:14], s[16:17], v[69:70]
	v_fma_f64 v[11:12], v[7:8], s[16:17], v[3:4]
	;; [unrolled: 1-line block ×3, first 2 shown]
	v_fma_f64 v[83:84], v[15:16], 2.0, -v[67:68]
	ds_store_b128 v21, v[65:68] offset:208
	ds_store_b128 v21, v[85:88] offset:64
	v_fma_f64 v[69:70], v[9:10], s[14:15], v[11:12]
	v_fma_f64 v[71:72], v[7:8], s[18:19], v[13:14]
	v_fma_f64 v[81:82], v[5:6], 2.0, -v[65:66]
	v_fma_f64 v[5:6], v[17:18], 2.0, -v[93:94]
	;; [unrolled: 1-line block ×5, first 2 shown]
	s_delay_alu instid0(VALU_DEP_2) | instskip(NEXT) | instid1(VALU_DEP_2)
	v_add_f64_e64 v[65:66], v[5:6], -v[9:10]
	v_add_f64_e64 v[67:68], v[7:8], -v[11:12]
	ds_store_b128 v21, v[65:68] offset:128
	ds_store_b128 v21, v[73:76] offset:32
	;; [unrolled: 1-line block ×4, first 2 shown]
	v_fma_f64 v[85:86], v[5:6], 2.0, -v[65:66]
	v_fma_f64 v[87:88], v[7:8], 2.0, -v[67:68]
	;; [unrolled: 1-line block ×4, first 2 shown]
	v_mad_co_u64_u32 v[1:2], null, 0xf0, v0, s[10:11]
	ds_store_b128 v21, v[69:72] offset:144
	ds_store_b128 v21, v[85:88]
	ds_store_b128 v21, v[65:68] offset:16
	global_wb scope:SCOPE_SE
	s_wait_dscnt 0x0
	s_barrier_signal -1
	s_barrier_wait -1
	global_inv scope:SCOPE_SE
	s_clause 0x5
	global_load_b128 v[65:68], v[1:2], off
	global_load_b128 v[125:128], v[1:2], off offset:16
	global_load_b128 v[121:124], v[1:2], off offset:32
	;; [unrolled: 1-line block ×5, first 2 shown]
	ds_load_b128 v[69:72], v186 offset:4096
	global_load_b128 v[101:104], v[1:2], off offset:96
	v_or_b32_e32 v0, v186, v185
	ds_load_b128 v[129:132], v186
	v_and_b32_e32 v0, 0xf0f, v0
	s_delay_alu instid0(VALU_DEP_1) | instskip(SKIP_3) | instid1(VALU_DEP_2)
	v_lshlrev_b32_e32 v255, 4, v0
	s_wait_loadcnt_dscnt 0x601
	v_mul_f64_e32 v[3:4], v[71:72], v[67:68]
	v_mul_f64_e32 v[5:6], v[69:70], v[67:68]
	v_fma_f64 v[3:4], v[69:70], v[65:66], -v[3:4]
	s_delay_alu instid0(VALU_DEP_2) | instskip(SKIP_4) | instid1(VALU_DEP_2)
	v_fma_f64 v[5:6], v[71:72], v[65:66], v[5:6]
	ds_load_b128 v[69:72], v186 offset:8192
	s_wait_loadcnt_dscnt 0x500
	v_mul_f64_e32 v[7:8], v[71:72], v[127:128]
	v_mul_f64_e32 v[9:10], v[69:70], v[127:128]
	v_fma_f64 v[7:8], v[69:70], v[125:126], -v[7:8]
	s_delay_alu instid0(VALU_DEP_2) | instskip(SKIP_4) | instid1(VALU_DEP_2)
	v_fma_f64 v[9:10], v[71:72], v[125:126], v[9:10]
	ds_load_b128 v[69:72], v186 offset:12288
	s_wait_loadcnt_dscnt 0x400
	v_mul_f64_e32 v[11:12], v[71:72], v[123:124]
	v_mul_f64_e32 v[13:14], v[69:70], v[123:124]
	v_fma_f64 v[11:12], v[69:70], v[121:122], -v[11:12]
	s_delay_alu instid0(VALU_DEP_2) | instskip(SKIP_4) | instid1(VALU_DEP_2)
	v_fma_f64 v[13:14], v[71:72], v[121:122], v[13:14]
	ds_load_b128 v[69:72], v186 offset:16384
	s_wait_loadcnt_dscnt 0x300
	v_mul_f64_e32 v[15:16], v[71:72], v[119:120]
	v_mul_f64_e32 v[17:18], v[69:70], v[119:120]
	v_fma_f64 v[15:16], v[69:70], v[117:118], -v[15:16]
	s_delay_alu instid0(VALU_DEP_2) | instskip(SKIP_3) | instid1(VALU_DEP_1)
	v_fma_f64 v[17:18], v[71:72], v[117:118], v[17:18]
	ds_load_b128 v[69:72], v186 offset:20480
	s_wait_loadcnt_dscnt 0x200
	v_mul_f64_e32 v[19:20], v[71:72], v[115:116]
	v_fma_f64 v[19:20], v[69:70], v[113:114], -v[19:20]
	v_mul_f64_e32 v[69:70], v[69:70], v[115:116]
	s_delay_alu instid0(VALU_DEP_1) | instskip(SKIP_3) | instid1(VALU_DEP_1)
	v_fma_f64 v[153:154], v[71:72], v[113:114], v[69:70]
	ds_load_b128 v[69:72], v186 offset:24576
	s_wait_loadcnt_dscnt 0x100
	v_mul_f64_e32 v[73:74], v[71:72], v[111:112]
	v_fma_f64 v[149:150], v[69:70], v[109:110], -v[73:74]
	v_mul_f64_e32 v[69:70], v[69:70], v[111:112]
	s_delay_alu instid0(VALU_DEP_1) | instskip(SKIP_3) | instid1(VALU_DEP_1)
	v_fma_f64 v[151:152], v[71:72], v[109:110], v[69:70]
	ds_load_b128 v[69:72], v186 offset:28672
	s_wait_loadcnt_dscnt 0x0
	v_mul_f64_e32 v[73:74], v[71:72], v[103:104]
	v_fma_f64 v[157:158], v[69:70], v[101:102], -v[73:74]
	global_load_b128 v[73:76], v[1:2], off offset:112
	v_mul_f64_e32 v[69:70], v[69:70], v[103:104]
	s_delay_alu instid0(VALU_DEP_1) | instskip(SKIP_3) | instid1(VALU_DEP_1)
	v_fma_f64 v[159:160], v[71:72], v[101:102], v[69:70]
	ds_load_b128 v[69:72], v186 offset:32768
	s_wait_loadcnt_dscnt 0x0
	v_mul_f64_e32 v[77:78], v[71:72], v[75:76]
	v_fma_f64 v[133:134], v[69:70], v[73:74], -v[77:78]
	global_load_b128 v[77:80], v[1:2], off offset:176
	;; [unrolled: 8-line block ×3, first 2 shown]
	v_mul_f64_e32 v[69:70], v[69:70], v[79:80]
	v_add_f64_e64 v[177:178], v[15:16], -v[137:138]
	s_delay_alu instid0(VALU_DEP_2) | instskip(SKIP_3) | instid1(VALU_DEP_1)
	v_fma_f64 v[139:140], v[71:72], v[77:78], v[69:70]
	ds_load_b128 v[69:72], v186 offset:40960
	v_fma_f64 v[15:16], v[15:16], 2.0, -v[177:178]
	v_add_f64_e64 v[179:180], v[17:18], -v[139:140]
	v_fma_f64 v[17:18], v[17:18], 2.0, -v[179:180]
	s_wait_loadcnt_dscnt 0x0
	v_mul_f64_e32 v[85:86], v[71:72], v[83:84]
	s_delay_alu instid0(VALU_DEP_1) | instskip(SKIP_2) | instid1(VALU_DEP_1)
	v_fma_f64 v[145:146], v[69:70], v[81:82], -v[85:86]
	global_load_b128 v[85:88], v[1:2], off offset:208
	v_mul_f64_e32 v[69:70], v[69:70], v[83:84]
	v_fma_f64 v[147:148], v[71:72], v[81:82], v[69:70]
	ds_load_b128 v[69:72], v186 offset:57344
	s_wait_loadcnt_dscnt 0x0
	v_mul_f64_e32 v[89:90], v[71:72], v[87:88]
	s_delay_alu instid0(VALU_DEP_1) | instskip(SKIP_3) | instid1(VALU_DEP_2)
	v_fma_f64 v[155:156], v[69:70], v[85:86], -v[89:90]
	global_load_b128 v[89:92], v[1:2], off offset:128
	v_mul_f64_e32 v[69:70], v[69:70], v[87:88]
	v_add_f64_e64 v[181:182], v[149:150], -v[155:156]
	v_fma_f64 v[161:162], v[71:72], v[85:86], v[69:70]
	ds_load_b128 v[69:72], v186 offset:36864
	v_add_f64_e64 v[183:184], v[151:152], -v[161:162]
	s_wait_loadcnt_dscnt 0x0
	v_mul_f64_e32 v[93:94], v[71:72], v[91:92]
	s_delay_alu instid0(VALU_DEP_1) | instskip(SKIP_3) | instid1(VALU_DEP_2)
	v_fma_f64 v[163:164], v[69:70], v[89:90], -v[93:94]
	global_load_b128 v[93:96], v[1:2], off offset:192
	v_mul_f64_e32 v[69:70], v[69:70], v[91:92]
	v_add_f64_e64 v[137:138], v[3:4], -v[163:164]
	v_fma_f64 v[165:166], v[71:72], v[89:90], v[69:70]
	ds_load_b128 v[69:72], v186 offset:53248
	s_wait_loadcnt_dscnt 0x0
	v_mul_f64_e32 v[97:98], v[71:72], v[95:96]
	s_delay_alu instid0(VALU_DEP_1) | instskip(SKIP_2) | instid1(VALU_DEP_1)
	v_fma_f64 v[167:168], v[69:70], v[93:94], -v[97:98]
	global_load_b128 v[97:100], v[1:2], off offset:160
	v_mul_f64_e32 v[69:70], v[69:70], v[95:96]
	v_fma_f64 v[169:170], v[71:72], v[93:94], v[69:70]
	ds_load_b128 v[69:72], v186 offset:45056
	s_wait_loadcnt_dscnt 0x0
	v_mul_f64_e32 v[105:106], v[71:72], v[99:100]
	s_delay_alu instid0(VALU_DEP_1) | instskip(SKIP_3) | instid1(VALU_DEP_2)
	v_fma_f64 v[171:172], v[69:70], v[97:98], -v[105:106]
	global_load_b128 v[105:108], v[1:2], off offset:224
	v_mul_f64_e32 v[69:70], v[69:70], v[99:100]
	v_add_f64_e64 v[139:140], v[11:12], -v[171:172]
	v_fma_f64 v[173:174], v[71:72], v[97:98], v[69:70]
	ds_load_b128 v[69:72], v186 offset:61440
	global_wb scope:SCOPE_SE
	s_wait_loadcnt_dscnt 0x0
	s_barrier_signal -1
	s_barrier_wait -1
	global_inv scope:SCOPE_SE
	v_mul_f64_e32 v[1:2], v[69:70], v[107:108]
	s_delay_alu instid0(VALU_DEP_1) | instskip(SKIP_1) | instid1(VALU_DEP_2)
	v_fma_f64 v[1:2], v[71:72], v[105:106], v[1:2]
	v_mul_f64_e32 v[71:72], v[71:72], v[107:108]
	v_add_f64_e64 v[1:2], v[159:160], -v[1:2]
	s_delay_alu instid0(VALU_DEP_2)
	v_fma_f64 v[175:176], v[69:70], v[105:106], -v[71:72]
	v_add_f64_e64 v[69:70], v[129:130], -v[133:134]
	v_add_f64_e64 v[71:72], v[131:132], -v[135:136]
	;; [unrolled: 1-line block ×7, first 2 shown]
	v_fma_f64 v[141:142], v[129:130], 2.0, -v[69:70]
	v_fma_f64 v[143:144], v[131:132], 2.0, -v[71:72]
	v_add_f64_e64 v[129:130], v[7:8], -v[145:146]
	v_add_f64_e64 v[131:132], v[9:10], -v[147:148]
	;; [unrolled: 1-line block ×3, first 2 shown]
	v_fma_f64 v[155:156], v[13:14], 2.0, -v[135:136]
	v_add_f64_e32 v[177:178], v[71:72], v[177:178]
	v_add_f64_e32 v[193:194], v[133:134], v[165:166]
	v_add_f64_e64 v[191:192], v[137:138], -v[167:168]
	v_fma_f64 v[13:14], v[157:158], 2.0, -v[169:170]
	v_add_f64_e64 v[15:16], v[141:142], -v[15:16]
	v_add_f64_e64 v[17:18], v[143:144], -v[17:18]
	v_fma_f64 v[145:146], v[7:8], 2.0, -v[129:130]
	v_fma_f64 v[147:148], v[9:10], 2.0, -v[131:132]
	;; [unrolled: 1-line block ×10, first 2 shown]
	v_add_f64_e64 v[183:184], v[129:130], -v[183:184]
	v_add_f64_e32 v[181:182], v[131:132], v[181:182]
	v_add_f64_e64 v[1:2], v[139:140], -v[1:2]
	v_add_f64_e32 v[195:196], v[135:136], v[169:170]
	v_add_f64_e64 v[7:8], v[145:146], -v[7:8]
	v_add_f64_e64 v[9:10], v[147:148], -v[9:10]
	;; [unrolled: 1-line block ×6, first 2 shown]
	v_fma_f64 v[165:166], v[183:184], s[12:13], v[179:180]
	v_add_f64_e32 v[175:176], v[17:18], v[7:8]
	v_add_f64_e64 v[19:20], v[15:16], -v[9:10]
	v_fma_f64 v[7:8], v[145:146], 2.0, -v[7:8]
	v_fma_f64 v[9:10], v[147:148], 2.0, -v[9:10]
	v_add_f64_e32 v[163:164], v[5:6], v[13:14]
	v_fma_f64 v[13:14], v[153:154], 2.0, -v[13:14]
	v_add_f64_e64 v[161:162], v[3:4], -v[11:12]
	v_fma_f64 v[197:198], v[181:182], s[2:3], v[165:166]
	v_fma_f64 v[165:166], v[181:182], s[12:13], v[177:178]
	v_fma_f64 v[11:12], v[155:156], 2.0, -v[11:12]
	v_fma_f64 v[189:190], v[17:18], 2.0, -v[175:176]
	;; [unrolled: 1-line block ×5, first 2 shown]
	v_fma_f64 v[159:160], v[163:164], s[12:13], v[175:176]
	v_fma_f64 v[157:158], v[161:162], s[12:13], v[19:20]
	v_fma_f64 v[171:172], v[3:4], 2.0, -v[161:162]
	v_fma_f64 v[199:200], v[183:184], s[12:13], v[165:166]
	v_fma_f64 v[165:166], v[1:2], s[12:13], v[191:192]
	v_fma_f64 v[201:202], v[179:180], 2.0, -v[197:198]
	v_fma_f64 v[3:4], v[149:150], 2.0, -v[3:4]
	v_add_f64_e64 v[7:8], v[15:16], -v[7:8]
	v_add_f64_e64 v[9:10], v[17:18], -v[9:10]
	v_fma_f64 v[159:160], v[161:162], s[12:13], v[159:160]
	v_fma_f64 v[161:162], v[5:6], 2.0, -v[163:164]
	v_fma_f64 v[5:6], v[151:152], 2.0, -v[5:6]
	v_fma_f64 v[157:158], v[163:164], s[2:3], v[157:158]
	v_fma_f64 v[163:164], v[171:172], s[2:3], v[187:188]
	v_fma_f64 v[203:204], v[177:178], 2.0, -v[199:200]
	v_fma_f64 v[169:170], v[195:196], s[2:3], v[165:166]
	v_fma_f64 v[165:166], v[195:196], s[12:13], v[193:194]
	v_add_f64_e64 v[13:14], v[3:4], -v[13:14]
	v_fma_f64 v[175:176], v[175:176], 2.0, -v[159:160]
	v_fma_f64 v[173:174], v[161:162], s[2:3], v[189:190]
	v_add_f64_e64 v[11:12], v[5:6], -v[11:12]
	v_fma_f64 v[161:162], v[161:162], s[2:3], v[163:164]
	v_add_f64_e32 v[143:144], v[9:10], v[13:14]
	v_fma_f64 v[3:4], v[3:4], 2.0, -v[13:14]
	v_fma_f64 v[163:164], v[171:172], s[12:13], v[173:174]
	v_fma_f64 v[171:172], v[1:2], s[12:13], v[165:166]
	;; [unrolled: 1-line block ×3, first 2 shown]
	v_fma_f64 v[173:174], v[191:192], 2.0, -v[169:170]
	v_fma_f64 v[1:2], v[139:140], 2.0, -v[1:2]
	;; [unrolled: 1-line block ×5, first 2 shown]
	v_add_f64_e64 v[141:142], v[7:8], -v[11:12]
	ds_store_b128 v255, v[157:160] offset:3584
	v_fma_f64 v[147:148], v[9:10], 2.0, -v[143:144]
	v_fma_f64 v[5:6], v[5:6], 2.0, -v[11:12]
	;; [unrolled: 1-line block ×3, first 2 shown]
	v_fma_f64 v[167:168], v[171:172], s[20:21], v[199:200]
	v_fma_f64 v[165:166], v[171:172], s[14:15], v[165:166]
	ds_store_b128 v255, v[141:144] offset:3072
	v_fma_f64 v[145:146], v[7:8], 2.0, -v[141:142]
	v_fma_f64 v[167:168], v[169:170], s[18:19], v[167:168]
	v_fma_f64 v[169:170], v[193:194], 2.0, -v[171:172]
	v_fma_f64 v[171:172], v[173:174], s[14:15], v[201:202]
	s_delay_alu instid0(VALU_DEP_3) | instskip(NEXT) | instid1(VALU_DEP_3)
	v_fma_f64 v[159:160], v[199:200], 2.0, -v[167:168]
	v_fma_f64 v[205:206], v[169:170], s[14:15], v[203:204]
	s_delay_alu instid0(VALU_DEP_3)
	v_fma_f64 v[169:170], v[169:170], s[16:17], v[171:172]
	ds_store_b128 v255, v[165:168] offset:3840
	v_fma_f64 v[171:172], v[173:174], s[20:21], v[205:206]
	v_fma_f64 v[173:174], v[19:20], 2.0, -v[157:158]
	v_fma_f64 v[19:20], v[137:138], 2.0, -v[191:192]
	;; [unrolled: 1-line block ×6, first 2 shown]
	ds_store_b128 v255, v[173:176] offset:1536
	ds_store_b128 v255, v[157:160] offset:1792
	v_fma_f64 v[133:134], v[1:2], s[2:3], v[19:20]
	ds_store_b128 v255, v[161:164] offset:2560
	ds_store_b128 v255, v[169:172] offset:2816
	v_fma_f64 v[133:134], v[131:132], s[2:3], v[133:134]
	v_fma_f64 v[131:132], v[131:132], s[2:3], v[129:130]
	s_delay_alu instid0(VALU_DEP_2) | instskip(NEXT) | instid1(VALU_DEP_2)
	v_fma_f64 v[19:20], v[19:20], 2.0, -v[133:134]
	v_fma_f64 v[1:2], v[1:2], s[12:13], v[131:132]
	v_fma_f64 v[131:132], v[71:72], s[2:3], v[139:140]
	s_delay_alu instid0(VALU_DEP_1) | instskip(SKIP_1) | instid1(VALU_DEP_2)
	v_fma_f64 v[143:144], v[69:70], s[12:13], v[131:132]
	v_fma_f64 v[69:70], v[69:70], s[2:3], v[137:138]
	v_fma_f64 v[151:152], v[139:140], 2.0, -v[143:144]
	s_delay_alu instid0(VALU_DEP_2) | instskip(SKIP_2) | instid1(VALU_DEP_3)
	v_fma_f64 v[141:142], v[71:72], s[2:3], v[69:70]
	v_fma_f64 v[69:70], v[1:2], s[18:19], v[143:144]
	v_fma_f64 v[139:140], v[203:204], 2.0, -v[171:172]
	v_fma_f64 v[131:132], v[133:134], s[18:19], v[141:142]
	v_fma_f64 v[149:150], v[137:138], 2.0, -v[141:142]
	s_delay_alu instid0(VALU_DEP_4)
	v_fma_f64 v[71:72], v[133:134], s[20:21], v[69:70]
	v_fma_f64 v[133:134], v[187:188], 2.0, -v[161:162]
	v_fma_f64 v[137:138], v[201:202], 2.0, -v[169:170]
	v_fma_f64 v[69:70], v[1:2], s[16:17], v[131:132]
	v_fma_f64 v[1:2], v[129:130], 2.0, -v[1:2]
	v_fma_f64 v[129:130], v[19:20], s[16:17], v[149:150]
	v_fma_f64 v[143:144], v[143:144], 2.0, -v[71:72]
	ds_store_b128 v255, v[69:72] offset:3328
	ds_store_b128 v255, v[145:148] offset:1024
	v_fma_f64 v[131:132], v[1:2], s[16:17], v[151:152]
	v_fma_f64 v[129:130], v[1:2], s[14:15], v[129:130]
	v_fma_f64 v[1:2], v[15:16], 2.0, -v[7:8]
	v_fma_f64 v[7:8], v[17:18], 2.0, -v[9:10]
	;; [unrolled: 1-line block ×3, first 2 shown]
	v_fma_f64 v[131:132], v[19:20], s[18:19], v[131:132]
	s_delay_alu instid0(VALU_DEP_4) | instskip(NEXT) | instid1(VALU_DEP_4)
	v_add_f64_e64 v[69:70], v[1:2], -v[3:4]
	v_add_f64_e64 v[71:72], v[7:8], -v[5:6]
	ds_store_b128 v255, v[69:72] offset:2048
	ds_store_b128 v255, v[133:136] offset:512
	;; [unrolled: 1-line block ×4, first 2 shown]
	v_fma_f64 v[145:146], v[1:2], 2.0, -v[69:70]
	v_fma_f64 v[147:148], v[7:8], 2.0, -v[71:72]
	;; [unrolled: 1-line block ×4, first 2 shown]
	v_mad_co_u64_u32 v[1:2], null, 0xf0, v185, s[10:11]
	ds_store_b128 v255, v[129:132] offset:2304
	ds_store_b128 v255, v[145:148]
	ds_store_b128 v255, v[69:72] offset:256
	global_wb scope:SCOPE_SE
	s_wait_dscnt 0x0
	s_barrier_signal -1
	s_barrier_wait -1
	global_inv scope:SCOPE_SE
	s_clause 0x1
	global_load_b128 v[69:72], v[1:2], off offset:3840
	global_load_b128 v[141:144], v[1:2], off offset:3888
	ds_load_b128 v[129:132], v186 offset:4096
	ds_load_b128 v[133:136], v186 offset:8192
	;; [unrolled: 1-line block ×3, first 2 shown]
	s_clause 0x4
	global_load_b128 v[157:160], v[1:2], off offset:3936
	global_load_b128 v[161:164], v[1:2], off offset:3952
	;; [unrolled: 1-line block ×5, first 2 shown]
	s_wait_loadcnt_dscnt 0x602
	v_mul_f64_e32 v[3:4], v[131:132], v[71:72]
	v_mul_f64_e32 v[5:6], v[129:130], v[71:72]
	s_delay_alu instid0(VALU_DEP_2) | instskip(NEXT) | instid1(VALU_DEP_2)
	v_fma_f64 v[3:4], v[129:130], v[69:70], -v[3:4]
	v_fma_f64 v[5:6], v[131:132], v[69:70], v[5:6]
	global_load_b128 v[129:132], v[1:2], off offset:3856
	s_wait_loadcnt_dscnt 0x1
	v_mul_f64_e32 v[7:8], v[135:136], v[131:132]
	v_mul_f64_e32 v[9:10], v[133:134], v[131:132]
	s_delay_alu instid0(VALU_DEP_2) | instskip(NEXT) | instid1(VALU_DEP_2)
	v_fma_f64 v[7:8], v[133:134], v[129:130], -v[7:8]
	v_fma_f64 v[9:10], v[135:136], v[129:130], v[9:10]
	global_load_b128 v[133:136], v[1:2], off offset:3872
	s_wait_loadcnt_dscnt 0x0
	v_mul_f64_e32 v[11:12], v[139:140], v[135:136]
	v_mul_f64_e32 v[13:14], v[137:138], v[135:136]
	s_delay_alu instid0(VALU_DEP_2) | instskip(NEXT) | instid1(VALU_DEP_2)
	v_fma_f64 v[11:12], v[137:138], v[133:134], -v[11:12]
	v_fma_f64 v[13:14], v[139:140], v[133:134], v[13:14]
	ds_load_b128 v[137:140], v186 offset:16384
	s_wait_dscnt 0x0
	v_mul_f64_e32 v[15:16], v[139:140], v[143:144]
	v_mul_f64_e32 v[17:18], v[137:138], v[143:144]
	s_delay_alu instid0(VALU_DEP_2) | instskip(NEXT) | instid1(VALU_DEP_2)
	v_fma_f64 v[15:16], v[137:138], v[141:142], -v[15:16]
	v_fma_f64 v[17:18], v[139:140], v[141:142], v[17:18]
	ds_load_b128 v[137:140], v186 offset:20480
	s_wait_dscnt 0x0
	v_mul_f64_e32 v[19:20], v[139:140], v[147:148]
	s_delay_alu instid0(VALU_DEP_1) | instskip(SKIP_1) | instid1(VALU_DEP_1)
	v_fma_f64 v[19:20], v[137:138], v[145:146], -v[19:20]
	v_mul_f64_e32 v[137:138], v[137:138], v[147:148]
	v_fma_f64 v[187:188], v[139:140], v[145:146], v[137:138]
	ds_load_b128 v[137:140], v186 offset:24576
	s_wait_dscnt 0x0
	v_mul_f64_e32 v[149:150], v[139:140], v[155:156]
	s_delay_alu instid0(VALU_DEP_1) | instskip(SKIP_1) | instid1(VALU_DEP_1)
	v_fma_f64 v[193:194], v[137:138], v[153:154], -v[149:150]
	v_mul_f64_e32 v[137:138], v[137:138], v[155:156]
	;; [unrolled: 7-line block ×3, first 2 shown]
	v_fma_f64 v[199:200], v[139:140], v[157:158], v[137:138]
	ds_load_b128 v[137:140], v186 offset:32768
	s_wait_dscnt 0x0
	v_mul_f64_e32 v[149:150], v[139:140], v[163:164]
	s_delay_alu instid0(VALU_DEP_1)
	v_fma_f64 v[201:202], v[137:138], v[161:162], -v[149:150]
	v_mul_f64_e32 v[137:138], v[137:138], v[163:164]
	ds_load_b128 v[149:152], v186 offset:36864
	v_fma_f64 v[203:204], v[139:140], v[161:162], v[137:138]
	global_load_b128 v[137:140], v[1:2], off offset:3968
	s_wait_loadcnt_dscnt 0x0
	v_mul_f64_e32 v[165:166], v[151:152], v[139:140]
	s_delay_alu instid0(VALU_DEP_1) | instskip(SKIP_2) | instid1(VALU_DEP_1)
	v_fma_f64 v[205:206], v[149:150], v[137:138], -v[165:166]
	global_load_b128 v[165:168], v[1:2], off offset:3984
	v_mul_f64_e32 v[149:150], v[149:150], v[139:140]
	v_fma_f64 v[207:208], v[151:152], v[137:138], v[149:150]
	ds_load_b128 v[149:152], v186 offset:40960
	s_wait_loadcnt_dscnt 0x0
	v_mul_f64_e32 v[169:170], v[151:152], v[167:168]
	s_delay_alu instid0(VALU_DEP_1)
	v_fma_f64 v[209:210], v[149:150], v[165:166], -v[169:170]
	v_mul_f64_e32 v[149:150], v[149:150], v[167:168]
	ds_load_b128 v[169:172], v186 offset:45056
	v_fma_f64 v[211:212], v[151:152], v[165:166], v[149:150]
	global_load_b128 v[149:152], v[1:2], off offset:4000
	s_wait_loadcnt_dscnt 0x0
	v_mul_f64_e32 v[173:174], v[171:172], v[151:152]
	s_delay_alu instid0(VALU_DEP_1) | instskip(SKIP_1) | instid1(VALU_DEP_2)
	v_fma_f64 v[213:214], v[169:170], v[149:150], -v[173:174]
	v_mul_f64_e32 v[169:170], v[169:170], v[151:152]
	v_add_f64_e64 v[213:214], v[11:12], -v[213:214]
	s_delay_alu instid0(VALU_DEP_2)
	v_fma_f64 v[215:216], v[171:172], v[149:150], v[169:170]
	ds_load_b128 v[169:172], v186 offset:49152
	s_wait_dscnt 0x0
	v_mul_f64_e32 v[173:174], v[171:172], v[179:180]
	v_fma_f64 v[11:12], v[11:12], 2.0, -v[213:214]
	v_add_f64_e64 v[215:216], v[13:14], -v[215:216]
	s_delay_alu instid0(VALU_DEP_3)
	v_fma_f64 v[217:218], v[169:170], v[177:178], -v[173:174]
	v_mul_f64_e32 v[169:170], v[169:170], v[179:180]
	ds_load_b128 v[173:176], v186 offset:53248
	v_fma_f64 v[13:14], v[13:14], 2.0, -v[215:216]
	v_fma_f64 v[219:220], v[171:172], v[177:178], v[169:170]
	global_load_b128 v[169:172], v[1:2], off offset:4032
	s_wait_loadcnt_dscnt 0x0
	v_mul_f64_e32 v[181:182], v[175:176], v[171:172]
	s_delay_alu instid0(VALU_DEP_1) | instskip(SKIP_2) | instid1(VALU_DEP_1)
	v_fma_f64 v[221:222], v[173:174], v[169:170], -v[181:182]
	global_load_b128 v[181:184], v[1:2], off offset:4048
	v_mul_f64_e32 v[173:174], v[173:174], v[171:172]
	v_fma_f64 v[223:224], v[175:176], v[169:170], v[173:174]
	ds_load_b128 v[173:176], v186 offset:57344
	s_wait_loadcnt_dscnt 0x0
	v_mul_f64_e32 v[189:190], v[175:176], v[183:184]
	s_delay_alu instid0(VALU_DEP_1)
	v_fma_f64 v[225:226], v[173:174], v[181:182], -v[189:190]
	v_mul_f64_e32 v[173:174], v[173:174], v[183:184]
	ds_load_b128 v[189:192], v186 offset:61440
	v_fma_f64 v[227:228], v[175:176], v[181:182], v[173:174]
	global_load_b128 v[173:176], v[1:2], off offset:4064
	s_wait_loadcnt_dscnt 0x0
	v_mul_f64_e32 v[1:2], v[191:192], v[175:176]
	s_delay_alu instid0(VALU_DEP_1) | instskip(SKIP_1) | instid1(VALU_DEP_2)
	v_fma_f64 v[1:2], v[189:190], v[173:174], -v[1:2]
	v_mul_f64_e32 v[189:190], v[189:190], v[175:176]
	v_add_f64_e64 v[24:25], v[197:198], -v[1:2]
	s_delay_alu instid0(VALU_DEP_2)
	v_fma_f64 v[229:230], v[191:192], v[173:174], v[189:190]
	ds_load_b128 v[189:192], v186
	s_wait_dscnt 0x0
	v_add_f64_e64 v[231:232], v[189:190], -v[201:202]
	v_add_f64_e64 v[233:234], v[191:192], -v[203:204]
	v_add_f64_e64 v[201:202], v[15:16], -v[217:218]
	v_add_f64_e64 v[203:204], v[17:18], -v[219:220]
	v_add_f64_e64 v[217:218], v[7:8], -v[209:210]
	v_add_f64_e64 v[219:220], v[9:10], -v[211:212]
	v_add_f64_e64 v[209:210], v[193:194], -v[225:226]
	v_add_f64_e64 v[211:212], v[195:196], -v[227:228]
	v_add_f64_e64 v[227:228], v[5:6], -v[207:208]
	v_add_f64_e64 v[207:208], v[187:188], -v[223:224]
	v_add_f64_e64 v[225:226], v[3:4], -v[205:206]
	v_add_f64_e64 v[205:206], v[19:20], -v[221:222]
	v_add_f64_e64 v[221:222], v[199:200], -v[229:230]
	v_fma_f64 v[235:236], v[189:190], 2.0, -v[231:232]
	v_fma_f64 v[237:238], v[191:192], 2.0, -v[233:234]
	;; [unrolled: 1-line block ×13, first 2 shown]
	v_add_f64_e64 v[251:252], v[231:232], -v[203:204]
	v_add_f64_e64 v[253:254], v[217:218], -v[211:212]
	v_add_f64_e32 v[22:23], v[233:234], v[201:202]
	v_add_f64_e32 v[2:3], v[219:220], v[209:210]
	v_fma_f64 v[193:194], v[199:200], 2.0, -v[221:222]
	v_add_f64_e64 v[26:27], v[225:226], -v[207:208]
	v_add_f64_e64 v[30:31], v[213:214], -v[221:222]
	v_add_f64_e32 v[0:1], v[227:228], v[205:206]
	v_add_f64_e32 v[24:25], v[215:216], v[24:25]
	v_add_f64_e64 v[15:16], v[235:236], -v[15:16]
	v_add_f64_e64 v[17:18], v[237:238], -v[17:18]
	;; [unrolled: 1-line block ×8, first 2 shown]
	v_add_f64_e32 v[245:246], v[17:18], v[223:224]
	v_add_f64_e64 v[243:244], v[15:16], -v[229:230]
	v_fma_f64 v[28:29], v[28:29], 2.0, -v[223:224]
	v_fma_f64 v[32:33], v[32:33], 2.0, -v[229:230]
	v_add_f64_e32 v[195:196], v[187:188], v[241:242]
	v_fma_f64 v[6:7], v[7:8], 2.0, -v[19:20]
	v_fma_f64 v[8:9], v[9:10], 2.0, -v[187:188]
	;; [unrolled: 1-line block ×3, first 2 shown]
	v_add_f64_e64 v[193:194], v[19:20], -v[239:240]
	v_fma_f64 v[13:14], v[13:14], 2.0, -v[239:240]
	v_fma_f64 v[249:250], v[17:18], 2.0, -v[245:246]
	;; [unrolled: 1-line block ×5, first 2 shown]
	v_fma_f64 v[191:192], v[195:196], s[12:13], v[245:246]
	v_add_f64_e64 v[10:11], v[6:7], -v[10:11]
	v_fma_f64 v[189:190], v[193:194], s[12:13], v[243:244]
	v_fma_f64 v[197:198], v[19:20], 2.0, -v[193:194]
	v_add_f64_e64 v[12:13], v[8:9], -v[13:14]
	v_add_f64_e64 v[19:20], v[15:16], -v[28:29]
	;; [unrolled: 1-line block ×3, first 2 shown]
	v_fma_f64 v[191:192], v[193:194], s[12:13], v[191:192]
	v_fma_f64 v[193:194], v[187:188], 2.0, -v[195:196]
	v_fma_f64 v[32:33], v[231:232], 2.0, -v[251:252]
	v_fma_f64 v[189:190], v[195:196], s[2:3], v[189:190]
	v_fma_f64 v[195:196], v[197:198], s[2:3], v[247:248]
	v_fma_f64 v[207:208], v[245:246], 2.0, -v[191:192]
	v_fma_f64 v[199:200], v[193:194], s[2:3], v[249:250]
	s_delay_alu instid0(VALU_DEP_3) | instskip(NEXT) | instid1(VALU_DEP_2)
	v_fma_f64 v[193:194], v[193:194], s[2:3], v[195:196]
	v_fma_f64 v[195:196], v[197:198], s[12:13], v[199:200]
	;; [unrolled: 1-line block ×3, first 2 shown]
	s_delay_alu instid0(VALU_DEP_1) | instskip(SKIP_2) | instid1(VALU_DEP_3)
	v_fma_f64 v[209:210], v[2:3], s[2:3], v[197:198]
	v_fma_f64 v[197:198], v[2:3], s[12:13], v[22:23]
	v_fma_f64 v[2:3], v[219:220], 2.0, -v[2:3]
	v_fma_f64 v[221:222], v[251:252], 2.0, -v[209:210]
	s_delay_alu instid0(VALU_DEP_3) | instskip(SKIP_1) | instid1(VALU_DEP_2)
	v_fma_f64 v[211:212], v[253:254], s[12:13], v[197:198]
	v_fma_f64 v[197:198], v[30:31], s[12:13], v[26:27]
	v_fma_f64 v[4:5], v[22:23], 2.0, -v[211:212]
	s_delay_alu instid0(VALU_DEP_2) | instskip(SKIP_3) | instid1(VALU_DEP_4)
	v_fma_f64 v[201:202], v[24:25], s[2:3], v[197:198]
	v_fma_f64 v[197:198], v[24:25], s[12:13], v[0:1]
	v_fma_f64 v[24:25], v[215:216], 2.0, -v[24:25]
	v_fma_f64 v[22:23], v[233:234], 2.0, -v[22:23]
	;; [unrolled: 1-line block ×3, first 2 shown]
	s_delay_alu instid0(VALU_DEP_4)
	v_fma_f64 v[203:204], v[30:31], s[12:13], v[197:198]
	v_fma_f64 v[26:27], v[225:226], 2.0, -v[26:27]
	v_fma_f64 v[30:31], v[213:214], 2.0, -v[30:31]
	v_fma_f64 v[197:198], v[201:202], s[20:21], v[209:210]
	v_fma_f64 v[34:35], v[205:206], s[14:15], v[221:222]
	;; [unrolled: 1-line block ×3, first 2 shown]
	s_delay_alu instid0(VALU_DEP_4) | instskip(NEXT) | instid1(VALU_DEP_4)
	v_fma_f64 v[187:188], v[30:31], s[2:3], v[26:27]
	v_fma_f64 v[197:198], v[203:204], s[14:15], v[197:198]
	s_delay_alu instid0(VALU_DEP_3)
	v_fma_f64 v[199:200], v[201:202], s[18:19], v[199:200]
	v_fma_f64 v[201:202], v[0:1], 2.0, -v[203:204]
	v_fma_f64 v[0:1], v[227:228], 2.0, -v[0:1]
	v_fma_f64 v[187:188], v[24:25], s[2:3], v[187:188]
	ds_store_b128 v186, v[189:192] offset:57344
	ds_store_b128 v186, v[197:200] offset:61440
	v_fma_f64 v[203:204], v[201:202], s[14:15], v[4:5]
	v_fma_f64 v[24:25], v[24:25], s[2:3], v[0:1]
	;; [unrolled: 1-line block ×3, first 2 shown]
	v_fma_f64 v[34:35], v[217:218], 2.0, -v[253:254]
	v_fma_f64 v[191:192], v[211:212], 2.0, -v[199:200]
	v_add_f64_e32 v[199:200], v[28:29], v[10:11]
	v_fma_f64 v[26:27], v[26:27], 2.0, -v[187:188]
	v_fma_f64 v[203:204], v[205:206], s[20:21], v[203:204]
	v_fma_f64 v[24:25], v[30:31], s[12:13], v[24:25]
	;; [unrolled: 1-line block ×3, first 2 shown]
	v_fma_f64 v[205:206], v[243:244], 2.0, -v[189:190]
	v_fma_f64 v[189:190], v[209:210], 2.0, -v[197:198]
	v_add_f64_e64 v[197:198], v[19:20], -v[12:13]
	v_fma_f64 v[211:212], v[28:29], 2.0, -v[199:200]
	v_fma_f64 v[0:1], v[0:1], 2.0, -v[24:25]
	v_fma_f64 v[30:31], v[34:35], s[12:13], v[30:31]
	v_fma_f64 v[34:35], v[34:35], s[2:3], v[32:33]
	v_fma_f64 v[209:210], v[19:20], 2.0, -v[197:198]
	ds_store_b128 v186, v[197:200] offset:49152
	ds_store_b128 v186, v[205:208] offset:24576
	;; [unrolled: 1-line block ×3, first 2 shown]
	v_fma_f64 v[189:190], v[247:248], 2.0, -v[193:194]
	v_fma_f64 v[191:192], v[249:250], 2.0, -v[195:196]
	ds_store_b128 v186, v[193:196] offset:40960
	ds_store_b128 v186, v[201:204] offset:45056
	v_fma_f64 v[193:194], v[221:222], 2.0, -v[201:202]
	v_fma_f64 v[195:196], v[4:5], 2.0, -v[203:204]
	;; [unrolled: 1-line block ×5, first 2 shown]
	v_fma_f64 v[2:3], v[2:3], s[2:3], v[34:35]
	v_fma_f64 v[34:35], v[24:25], s[18:19], v[30:31]
	s_delay_alu instid0(VALU_DEP_2) | instskip(NEXT) | instid1(VALU_DEP_2)
	v_fma_f64 v[197:198], v[187:188], s[18:19], v[2:3]
	v_fma_f64 v[199:200], v[187:188], s[20:21], v[34:35]
	v_fma_f64 v[34:35], v[0:1], s[16:17], v[22:23]
	s_delay_alu instid0(VALU_DEP_3) | instskip(SKIP_1) | instid1(VALU_DEP_4)
	v_fma_f64 v[197:198], v[24:25], s[16:17], v[197:198]
	v_fma_f64 v[24:25], v[32:33], 2.0, -v[2:3]
	v_fma_f64 v[203:204], v[30:31], 2.0, -v[199:200]
	ds_store_b128 v186, v[197:200] offset:53248
	ds_store_b128 v186, v[209:212] offset:16384
	v_fma_f64 v[32:33], v[26:27], s[16:17], v[24:25]
	v_fma_f64 v[201:202], v[2:3], 2.0, -v[197:198]
	v_fma_f64 v[2:3], v[17:18], 2.0, -v[28:29]
	v_fma_f64 v[215:216], v[26:27], s[18:19], v[34:35]
	s_delay_alu instid0(VALU_DEP_4) | instskip(SKIP_1) | instid1(VALU_DEP_4)
	v_fma_f64 v[213:214], v[0:1], s[14:15], v[32:33]
	v_fma_f64 v[0:1], v[15:16], 2.0, -v[19:20]
	v_add_f64_e64 v[199:200], v[2:3], -v[6:7]
	s_delay_alu instid0(VALU_DEP_2) | instskip(NEXT) | instid1(VALU_DEP_2)
	v_add_f64_e64 v[197:198], v[0:1], -v[4:5]
	v_fma_f64 v[207:208], v[2:3], 2.0, -v[199:200]
	ds_store_b128 v186, v[197:200] offset:32768
	ds_store_b128 v186, v[189:192] offset:8192
	;; [unrolled: 1-line block ×4, first 2 shown]
	v_fma_f64 v[205:206], v[0:1], 2.0, -v[197:198]
	v_fma_f64 v[189:190], v[24:25], 2.0, -v[213:214]
	;; [unrolled: 1-line block ×3, first 2 shown]
	ds_store_b128 v186, v[213:216] offset:36864
	ds_store_b128 v186, v[205:208]
	ds_store_b128 v186, v[189:192] offset:4096
	global_wb scope:SCOPE_SE
	s_wait_dscnt 0x0
	s_barrier_signal -1
	s_barrier_wait -1
	global_inv scope:SCOPE_SE
	global_load_b128 v[189:192], v186, s[8:9] offset:65536
	ds_load_b128 v[193:196], v186
	ds_load_b128 v[205:208], v186 offset:8192
	s_add_nc_u64 s[8:9], s[8:9], 0x10000
	ds_load_b128 v[199:202], v186 offset:4096
	ds_load_b128 v[211:214], v186 offset:12288
	;; [unrolled: 1-line block ×8, first 2 shown]
	s_wait_loadcnt_dscnt 0x9
	v_mul_f64_e32 v[0:1], v[195:196], v[191:192]
	v_mul_f64_e32 v[2:3], v[193:194], v[191:192]
	s_delay_alu instid0(VALU_DEP_2) | instskip(NEXT) | instid1(VALU_DEP_2)
	v_fma_f64 v[191:192], v[193:194], v[189:190], -v[0:1]
	v_fma_f64 v[193:194], v[195:196], v[189:190], v[2:3]
	global_load_b128 v[195:198], v186, s[8:9] offset:4096
	ds_load_b128 v[187:190], v186 offset:40960
	s_wait_loadcnt_dscnt 0x8
	v_mul_f64_e32 v[0:1], v[201:202], v[197:198]
	v_mul_f64_e32 v[2:3], v[199:200], v[197:198]
	s_delay_alu instid0(VALU_DEP_2) | instskip(NEXT) | instid1(VALU_DEP_2)
	v_fma_f64 v[197:198], v[199:200], v[195:196], -v[0:1]
	v_fma_f64 v[199:200], v[201:202], v[195:196], v[2:3]
	global_load_b128 v[201:204], v186, s[8:9] offset:8192
	s_wait_loadcnt 0x0
	v_mul_f64_e32 v[0:1], v[207:208], v[203:204]
	v_mul_f64_e32 v[2:3], v[205:206], v[203:204]
	s_delay_alu instid0(VALU_DEP_2) | instskip(NEXT) | instid1(VALU_DEP_2)
	v_fma_f64 v[203:204], v[205:206], v[201:202], -v[0:1]
	v_fma_f64 v[205:206], v[207:208], v[201:202], v[2:3]
	global_load_b128 v[207:210], v186, s[8:9] offset:12288
	s_wait_loadcnt_dscnt 0x7
	v_mul_f64_e32 v[0:1], v[213:214], v[209:210]
	v_mul_f64_e32 v[2:3], v[211:212], v[209:210]
	s_delay_alu instid0(VALU_DEP_2) | instskip(NEXT) | instid1(VALU_DEP_2)
	v_fma_f64 v[209:210], v[211:212], v[207:208], -v[0:1]
	v_fma_f64 v[211:212], v[213:214], v[207:208], v[2:3]
	global_load_b128 v[213:216], v186, s[8:9] offset:16384
	s_wait_loadcnt_dscnt 0x6
	;; [unrolled: 7-line block ×5, first 2 shown]
	v_mul_f64_e32 v[0:1], v[237:238], v[233:234]
	v_mul_f64_e32 v[2:3], v[235:236], v[233:234]
	s_delay_alu instid0(VALU_DEP_2) | instskip(NEXT) | instid1(VALU_DEP_2)
	v_fma_f64 v[233:234], v[235:236], v[231:232], -v[0:1]
	v_fma_f64 v[235:236], v[237:238], v[231:232], v[2:3]
	global_load_b128 v[237:240], v186, s[8:9] offset:32768
	s_wait_loadcnt 0x0
	v_mul_f64_e32 v[0:1], v[243:244], v[239:240]
	v_mul_f64_e32 v[2:3], v[241:242], v[239:240]
	s_delay_alu instid0(VALU_DEP_2) | instskip(NEXT) | instid1(VALU_DEP_2)
	v_fma_f64 v[239:240], v[241:242], v[237:238], -v[0:1]
	v_fma_f64 v[241:242], v[243:244], v[237:238], v[2:3]
	global_load_b128 v[243:246], v186, s[8:9] offset:36864
	s_wait_loadcnt 0x0
	v_mul_f64_e32 v[0:1], v[249:250], v[245:246]
	v_mul_f64_e32 v[2:3], v[247:248], v[245:246]
	s_delay_alu instid0(VALU_DEP_2) | instskip(NEXT) | instid1(VALU_DEP_2)
	v_fma_f64 v[245:246], v[247:248], v[243:244], -v[0:1]
	v_fma_f64 v[247:248], v[249:250], v[243:244], v[2:3]
	global_load_b128 v[249:252], v186, s[8:9] offset:40960
	s_wait_loadcnt_dscnt 0x0
	v_mul_f64_e32 v[0:1], v[189:190], v[251:252]
	v_mul_f64_e32 v[2:3], v[187:188], v[251:252]
	s_delay_alu instid0(VALU_DEP_2) | instskip(NEXT) | instid1(VALU_DEP_2)
	v_fma_f64 v[187:188], v[187:188], v[249:250], -v[0:1]
	v_fma_f64 v[189:190], v[189:190], v[249:250], v[2:3]
	global_load_b128 v[249:252], v186, s[8:9] offset:45056
	ds_load_b128 v[0:3], v186 offset:45056
	s_wait_loadcnt_dscnt 0x0
	v_mul_f64_e32 v[4:5], v[2:3], v[251:252]
	v_mul_f64_e32 v[6:7], v[0:1], v[251:252]
	s_delay_alu instid0(VALU_DEP_2) | instskip(NEXT) | instid1(VALU_DEP_2)
	v_fma_f64 v[16:17], v[0:1], v[249:250], -v[4:5]
	v_fma_f64 v[18:19], v[2:3], v[249:250], v[6:7]
	global_load_b128 v[249:252], v186, s[8:9] offset:49152
	ds_load_b128 v[0:3], v186 offset:49152
	s_wait_loadcnt_dscnt 0x0
	v_mul_f64_e32 v[4:5], v[2:3], v[251:252]
	v_mul_f64_e32 v[6:7], v[0:1], v[251:252]
	s_delay_alu instid0(VALU_DEP_2) | instskip(NEXT) | instid1(VALU_DEP_2)
	v_fma_f64 v[12:13], v[0:1], v[249:250], -v[4:5]
	v_fma_f64 v[14:15], v[2:3], v[249:250], v[6:7]
	global_load_b128 v[249:252], v186, s[8:9] offset:53248
	ds_load_b128 v[0:3], v186 offset:53248
	s_wait_loadcnt_dscnt 0x0
	v_mul_f64_e32 v[4:5], v[2:3], v[251:252]
	v_mul_f64_e32 v[6:7], v[0:1], v[251:252]
	s_delay_alu instid0(VALU_DEP_2) | instskip(NEXT) | instid1(VALU_DEP_2)
	v_fma_f64 v[8:9], v[0:1], v[249:250], -v[4:5]
	v_fma_f64 v[10:11], v[2:3], v[249:250], v[6:7]
	global_load_b128 v[249:252], v186, s[8:9] offset:57344
	ds_load_b128 v[0:3], v186 offset:57344
	s_wait_loadcnt_dscnt 0x0
	v_mul_f64_e32 v[4:5], v[2:3], v[251:252]
	v_mul_f64_e32 v[6:7], v[0:1], v[251:252]
	s_delay_alu instid0(VALU_DEP_2) | instskip(NEXT) | instid1(VALU_DEP_2)
	v_fma_f64 v[4:5], v[0:1], v[249:250], -v[4:5]
	v_fma_f64 v[6:7], v[2:3], v[249:250], v[6:7]
	global_load_b128 v[249:252], v186, s[8:9] offset:61440
	ds_load_b128 v[0:3], v186 offset:61440
	s_wait_loadcnt_dscnt 0x0
	v_mul_f64_e32 v[22:23], v[2:3], v[251:252]
	v_mul_f64_e32 v[24:25], v[0:1], v[251:252]
	s_delay_alu instid0(VALU_DEP_2) | instskip(NEXT) | instid1(VALU_DEP_2)
	v_fma_f64 v[0:1], v[0:1], v[249:250], -v[22:23]
	v_fma_f64 v[2:3], v[2:3], v[249:250], v[24:25]
	ds_store_b128 v186, v[191:194]
	ds_store_b128 v186, v[197:200] offset:4096
	ds_store_b128 v186, v[203:206] offset:8192
	;; [unrolled: 1-line block ×15, first 2 shown]
	global_wb scope:SCOPE_SE
	s_wait_dscnt 0x0
	s_barrier_signal -1
	s_barrier_wait -1
	global_inv scope:SCOPE_SE
	ds_load_b128 v[0:3], v186 offset:32768
	ds_load_b128 v[4:7], v186
	s_wait_dscnt 0x0
	v_add_f64_e64 v[22:23], v[4:5], -v[0:1]
	v_add_f64_e64 v[24:25], v[6:7], -v[2:3]
	ds_load_b128 v[0:3], v186 offset:16384
	ds_load_b128 v[8:11], v186 offset:49152
	s_wait_dscnt 0x0
	v_add_f64_e64 v[26:27], v[0:1], -v[8:9]
	v_add_f64_e64 v[28:29], v[2:3], -v[10:11]
	ds_load_b128 v[8:11], v186 offset:8192
	ds_load_b128 v[12:15], v186 offset:40960
	v_fma_f64 v[217:218], v[4:5], 2.0, -v[22:23]
	v_fma_f64 v[219:220], v[6:7], 2.0, -v[24:25]
	s_wait_dscnt 0x0
	v_add_f64_e64 v[30:31], v[8:9], -v[12:13]
	v_add_f64_e64 v[32:33], v[10:11], -v[14:15]
	ds_load_b128 v[12:15], v186 offset:24576
	ds_load_b128 v[16:19], v186 offset:57344
	v_fma_f64 v[0:1], v[0:1], 2.0, -v[26:27]
	v_fma_f64 v[2:3], v[2:3], 2.0, -v[28:29]
	v_add_f64_e32 v[28:29], v[22:23], v[28:29]
	v_add_f64_e64 v[26:27], v[24:25], -v[26:27]
	s_wait_dscnt 0x0
	v_add_f64_e64 v[34:35], v[12:13], -v[16:17]
	v_add_f64_e64 v[203:204], v[14:15], -v[18:19]
	ds_load_b128 v[16:19], v186 offset:4096
	ds_load_b128 v[187:190], v186 offset:36864
	v_fma_f64 v[221:222], v[8:9], 2.0, -v[30:31]
	v_fma_f64 v[223:224], v[10:11], 2.0, -v[32:33]
	s_wait_dscnt 0x0
	v_add_f64_e64 v[205:206], v[16:17], -v[187:188]
	v_add_f64_e64 v[207:208], v[18:19], -v[189:190]
	ds_load_b128 v[187:190], v186 offset:20480
	ds_load_b128 v[191:194], v186 offset:53248
	v_fma_f64 v[22:23], v[22:23], 2.0, -v[28:29]
	v_fma_f64 v[24:25], v[24:25], 2.0, -v[26:27]
	;; [unrolled: 1-line block ×4, first 2 shown]
	v_add_f64_e32 v[203:204], v[30:31], v[203:204]
	v_add_f64_e64 v[34:35], v[32:33], -v[34:35]
	s_wait_dscnt 0x0
	v_add_f64_e64 v[209:210], v[187:188], -v[191:192]
	v_add_f64_e64 v[211:212], v[189:190], -v[193:194]
	ds_load_b128 v[191:194], v186 offset:12288
	ds_load_b128 v[195:198], v186 offset:45056
	v_fma_f64 v[225:226], v[16:17], 2.0, -v[205:206]
	v_fma_f64 v[227:228], v[18:19], 2.0, -v[207:208]
	s_wait_dscnt 0x0
	v_add_f64_e64 v[213:214], v[191:192], -v[195:196]
	v_add_f64_e64 v[215:216], v[193:194], -v[197:198]
	ds_load_b128 v[195:198], v186 offset:28672
	ds_load_b128 v[199:202], v186 offset:61440
	global_wb scope:SCOPE_SE
	s_wait_dscnt 0x0
	s_barrier_signal -1
	s_barrier_wait -1
	global_inv scope:SCOPE_SE
	v_fma_f64 v[8:9], v[187:188], 2.0, -v[209:210]
	v_fma_f64 v[10:11], v[189:190], 2.0, -v[211:212]
	v_add_f64_e32 v[211:212], v[205:206], v[211:212]
	v_add_f64_e64 v[209:210], v[207:208], -v[209:210]
	v_add_f64_e64 v[199:200], v[195:196], -v[199:200]
	;; [unrolled: 1-line block ×3, first 2 shown]
	v_fma_f64 v[187:188], v[191:192], 2.0, -v[213:214]
	v_fma_f64 v[189:190], v[193:194], 2.0, -v[215:216]
	v_add_f64_e64 v[193:194], v[219:220], -v[2:3]
	v_add_f64_e64 v[191:192], v[217:218], -v[0:1]
	;; [unrolled: 1-line block ×4, first 2 shown]
	v_fma_f64 v[14:15], v[195:196], 2.0, -v[199:200]
	v_fma_f64 v[12:13], v[197:198], 2.0, -v[201:202]
	v_add_f64_e64 v[195:196], v[221:222], -v[4:5]
	v_add_f64_e64 v[197:198], v[223:224], -v[6:7]
	v_add_f64_e32 v[201:202], v[213:214], v[201:202]
	v_add_f64_e64 v[199:200], v[215:216], -v[199:200]
	v_fma_f64 v[219:220], v[219:220], 2.0, -v[193:194]
	v_fma_f64 v[217:218], v[217:218], 2.0, -v[191:192]
	v_add_f64_e64 v[235:236], v[187:188], -v[14:15]
	v_add_f64_e64 v[233:234], v[189:190], -v[12:13]
	v_add_f64_e64 v[18:19], v[193:194], -v[195:196]
	v_add_f64_e32 v[16:17], v[191:192], v[197:198]
	s_delay_alu instid0(VALU_DEP_4) | instskip(NEXT) | instid1(VALU_DEP_4)
	v_add_f64_e64 v[6:7], v[231:232], -v[235:236]
	v_add_f64_e32 v[4:5], v[229:230], v[233:234]
	s_delay_alu instid0(VALU_DEP_4) | instskip(NEXT) | instid1(VALU_DEP_4)
	v_fma_f64 v[239:240], v[193:194], 2.0, -v[18:19]
	v_fma_f64 v[237:238], v[191:192], 2.0, -v[16:17]
	;; [unrolled: 1-line block ×4, first 2 shown]
	v_fma_f64 v[2:3], v[6:7], s[12:13], v[18:19]
	v_fma_f64 v[0:1], v[4:5], s[12:13], v[16:17]
	v_fma_f64 v[8:9], v[229:230], 2.0, -v[4:5]
	s_delay_alu instid0(VALU_DEP_3) | instskip(SKIP_1) | instid1(VALU_DEP_4)
	v_fma_f64 v[2:3], v[4:5], s[2:3], v[2:3]
	v_fma_f64 v[4:5], v[231:232], 2.0, -v[6:7]
	v_fma_f64 v[0:1], v[6:7], s[12:13], v[0:1]
	s_delay_alu instid0(VALU_DEP_4) | instskip(NEXT) | instid1(VALU_DEP_4)
	v_fma_f64 v[6:7], v[8:9], s[2:3], v[237:238]
	v_fma_f64 v[18:19], v[18:19], 2.0, -v[2:3]
	s_delay_alu instid0(VALU_DEP_4) | instskip(NEXT) | instid1(VALU_DEP_4)
	v_fma_f64 v[10:11], v[4:5], s[2:3], v[239:240]
	v_fma_f64 v[16:17], v[16:17], 2.0, -v[0:1]
	s_delay_alu instid0(VALU_DEP_4) | instskip(NEXT) | instid1(VALU_DEP_3)
	v_fma_f64 v[4:5], v[4:5], s[12:13], v[6:7]
	v_fma_f64 v[6:7], v[8:9], s[2:3], v[10:11]
	v_fma_f64 v[8:9], v[203:204], s[12:13], v[28:29]
	s_delay_alu instid0(VALU_DEP_1) | instskip(SKIP_1) | instid1(VALU_DEP_2)
	v_fma_f64 v[241:242], v[34:35], s[12:13], v[8:9]
	v_fma_f64 v[8:9], v[34:35], s[12:13], v[26:27]
	v_fma_f64 v[247:248], v[28:29], 2.0, -v[241:242]
	s_delay_alu instid0(VALU_DEP_2) | instskip(SKIP_3) | instid1(VALU_DEP_4)
	v_fma_f64 v[243:244], v[203:204], s[2:3], v[8:9]
	v_fma_f64 v[8:9], v[201:202], s[12:13], v[211:212]
	v_fma_f64 v[28:29], v[32:33], 2.0, -v[34:35]
	v_fma_f64 v[32:33], v[215:216], 2.0, -v[199:200]
	;; [unrolled: 1-line block ×3, first 2 shown]
	s_delay_alu instid0(VALU_DEP_4) | instskip(SKIP_3) | instid1(VALU_DEP_4)
	v_fma_f64 v[12:13], v[199:200], s[12:13], v[8:9]
	v_fma_f64 v[8:9], v[199:200], s[12:13], v[209:210]
	v_fma_f64 v[26:27], v[30:31], 2.0, -v[203:204]
	v_fma_f64 v[30:31], v[207:208], 2.0, -v[209:210]
	;; [unrolled: 1-line block ×3, first 2 shown]
	s_delay_alu instid0(VALU_DEP_4) | instskip(SKIP_1) | instid1(VALU_DEP_2)
	v_fma_f64 v[14:15], v[201:202], s[2:3], v[8:9]
	v_fma_f64 v[8:9], v[12:13], s[20:21], v[241:242]
	v_fma_f64 v[10:11], v[14:15], s[20:21], v[243:244]
	s_delay_alu instid0(VALU_DEP_2) | instskip(NEXT) | instid1(VALU_DEP_2)
	v_fma_f64 v[8:9], v[14:15], s[18:19], v[8:9]
	v_fma_f64 v[10:11], v[12:13], s[14:15], v[10:11]
	ds_store_b128 v21, v[0:3] offset:224
	v_fma_f64 v[0:1], v[241:242], 2.0, -v[8:9]
	v_fma_f64 v[12:13], v[209:210], 2.0, -v[14:15]
	v_fma_f64 v[14:15], v[245:246], s[14:15], v[247:248]
	ds_store_b128 v21, v[8:11] offset:240
	v_fma_f64 v[2:3], v[243:244], 2.0, -v[10:11]
	v_fma_f64 v[8:9], v[221:222], 2.0, -v[195:196]
	v_fma_f64 v[10:11], v[223:224], 2.0, -v[197:198]
	v_fma_f64 v[195:196], v[225:226], 2.0, -v[229:230]
	v_fma_f64 v[197:198], v[227:228], 2.0, -v[231:232]
	v_fma_f64 v[251:252], v[12:13], s[14:15], v[249:250]
	v_fma_f64 v[12:13], v[12:13], s[20:21], v[14:15]
	v_add_f64_e64 v[221:222], v[217:218], -v[8:9]
	v_add_f64_e64 v[223:224], v[219:220], -v[10:11]
	;; [unrolled: 1-line block ×4, first 2 shown]
	v_fma_f64 v[14:15], v[245:246], s[16:17], v[251:252]
	s_delay_alu instid0(VALU_DEP_3) | instskip(NEXT) | instid1(VALU_DEP_3)
	v_add_f64_e64 v[10:11], v[223:224], -v[227:228]
	v_add_f64_e32 v[8:9], v[221:222], v[225:226]
	s_delay_alu instid0(VALU_DEP_2) | instskip(NEXT) | instid1(VALU_DEP_2)
	v_fma_f64 v[189:190], v[223:224], 2.0, -v[10:11]
	v_fma_f64 v[187:188], v[221:222], 2.0, -v[8:9]
	ds_store_b128 v21, v[8:11] offset:192
	v_fma_f64 v[8:9], v[205:206], 2.0, -v[211:212]
	v_fma_f64 v[10:11], v[213:214], 2.0, -v[201:202]
	ds_store_b128 v21, v[16:19] offset:96
	ds_store_b128 v21, v[0:3] offset:112
	v_fma_f64 v[0:1], v[237:238], 2.0, -v[4:5]
	v_fma_f64 v[2:3], v[239:240], 2.0, -v[6:7]
	ds_store_b128 v21, v[4:7] offset:160
	ds_store_b128 v21, v[12:15] offset:176
	v_fma_f64 v[4:5], v[247:248], 2.0, -v[12:13]
	v_fma_f64 v[6:7], v[249:250], 2.0, -v[14:15]
	;; [unrolled: 1-line block ×4, first 2 shown]
	v_fma_f64 v[34:35], v[10:11], s[2:3], v[8:9]
	s_delay_alu instid0(VALU_DEP_1) | instskip(SKIP_1) | instid1(VALU_DEP_1)
	v_fma_f64 v[34:35], v[32:33], s[12:13], v[34:35]
	v_fma_f64 v[32:33], v[32:33], s[2:3], v[30:31]
	v_fma_f64 v[32:33], v[10:11], s[2:3], v[32:33]
	v_fma_f64 v[10:11], v[28:29], s[2:3], v[24:25]
	s_delay_alu instid0(VALU_DEP_2) | instskip(NEXT) | instid1(VALU_DEP_2)
	v_fma_f64 v[30:31], v[30:31], 2.0, -v[32:33]
	v_fma_f64 v[199:200], v[26:27], s[2:3], v[10:11]
	v_fma_f64 v[10:11], v[26:27], s[2:3], v[22:23]
	s_delay_alu instid0(VALU_DEP_2) | instskip(NEXT) | instid1(VALU_DEP_2)
	v_fma_f64 v[24:25], v[24:25], 2.0, -v[199:200]
	v_fma_f64 v[26:27], v[28:29], s[12:13], v[10:11]
	v_fma_f64 v[28:29], v[8:9], 2.0, -v[34:35]
	v_fma_f64 v[8:9], v[32:33], s[18:19], v[199:200]
	s_delay_alu instid0(VALU_DEP_3) | instskip(SKIP_1) | instid1(VALU_DEP_3)
	v_fma_f64 v[191:192], v[34:35], s[18:19], v[26:27]
	v_fma_f64 v[22:23], v[22:23], 2.0, -v[26:27]
	v_fma_f64 v[10:11], v[34:35], s[16:17], v[8:9]
	v_fma_f64 v[34:35], v[30:31], s[16:17], v[24:25]
	s_delay_alu instid0(VALU_DEP_4)
	v_fma_f64 v[8:9], v[32:33], s[20:21], v[191:192]
	ds_store_b128 v21, v[8:11] offset:208
	ds_store_b128 v21, v[187:190] offset:64
	v_fma_f64 v[12:13], v[26:27], 2.0, -v[8:9]
	v_fma_f64 v[14:15], v[199:200], 2.0, -v[10:11]
	;; [unrolled: 1-line block ×4, first 2 shown]
	v_fma_f64 v[32:33], v[28:29], s[16:17], v[22:23]
	v_fma_f64 v[193:194], v[28:29], s[14:15], v[34:35]
	s_delay_alu instid0(VALU_DEP_4) | instskip(NEXT) | instid1(VALU_DEP_4)
	v_add_f64_e64 v[8:9], v[16:17], -v[8:9]
	v_add_f64_e64 v[10:11], v[18:19], -v[10:11]
	s_delay_alu instid0(VALU_DEP_4)
	v_fma_f64 v[191:192], v[30:31], s[18:19], v[32:33]
	ds_store_b128 v21, v[8:11] offset:128
	ds_store_b128 v21, v[0:3] offset:32
	;; [unrolled: 1-line block ×4, first 2 shown]
	v_fma_f64 v[16:17], v[16:17], 2.0, -v[8:9]
	v_fma_f64 v[18:19], v[18:19], 2.0, -v[10:11]
	;; [unrolled: 1-line block ×4, first 2 shown]
	ds_store_b128 v21, v[191:194] offset:144
	ds_store_b128 v21, v[16:19]
	ds_store_b128 v21, v[0:3] offset:16
	global_wb scope:SCOPE_SE
	s_wait_dscnt 0x0
	s_barrier_signal -1
	s_barrier_wait -1
	global_inv scope:SCOPE_SE
	ds_load_b128 v[0:3], v186 offset:4096
	s_wait_dscnt 0x0
	v_mul_f64_e32 v[4:5], v[67:68], v[2:3]
	s_delay_alu instid0(VALU_DEP_1) | instskip(SKIP_1) | instid1(VALU_DEP_1)
	v_fma_f64 v[4:5], v[65:66], v[0:1], v[4:5]
	v_mul_f64_e32 v[0:1], v[67:68], v[0:1]
	v_fma_f64 v[6:7], v[65:66], v[2:3], -v[0:1]
	ds_load_b128 v[0:3], v186 offset:8192
	s_wait_dscnt 0x0
	v_mul_f64_e32 v[8:9], v[127:128], v[2:3]
	s_delay_alu instid0(VALU_DEP_1) | instskip(SKIP_1) | instid1(VALU_DEP_1)
	v_fma_f64 v[8:9], v[125:126], v[0:1], v[8:9]
	v_mul_f64_e32 v[0:1], v[127:128], v[0:1]
	v_fma_f64 v[10:11], v[125:126], v[2:3], -v[0:1]
	;; [unrolled: 7-line block ×8, first 2 shown]
	ds_load_b128 v[0:3], v186 offset:49152
	s_wait_dscnt 0x0
	v_mul_f64_e32 v[65:66], v[79:80], v[2:3]
	s_delay_alu instid0(VALU_DEP_1) | instskip(SKIP_1) | instid1(VALU_DEP_2)
	v_fma_f64 v[65:66], v[77:78], v[0:1], v[65:66]
	v_mul_f64_e32 v[0:1], v[79:80], v[0:1]
	v_add_f64_e64 v[65:66], v[16:17], -v[65:66]
	s_delay_alu instid0(VALU_DEP_2) | instskip(SKIP_4) | instid1(VALU_DEP_2)
	v_fma_f64 v[67:68], v[77:78], v[2:3], -v[0:1]
	ds_load_b128 v[0:3], v186 offset:40960
	s_wait_dscnt 0x0
	v_mul_f64_e32 v[73:74], v[83:84], v[2:3]
	v_add_f64_e64 v[67:68], v[18:19], -v[67:68]
	v_fma_f64 v[73:74], v[81:82], v[0:1], v[73:74]
	v_mul_f64_e32 v[0:1], v[83:84], v[0:1]
	s_delay_alu instid0(VALU_DEP_2) | instskip(NEXT) | instid1(VALU_DEP_2)
	v_add_f64_e64 v[73:74], v[8:9], -v[73:74]
	v_fma_f64 v[75:76], v[81:82], v[2:3], -v[0:1]
	ds_load_b128 v[0:3], v186 offset:57344
	s_wait_dscnt 0x0
	v_mul_f64_e32 v[77:78], v[87:88], v[2:3]
	v_fma_f64 v[101:102], v[8:9], 2.0, -v[73:74]
	v_add_f64_e64 v[75:76], v[10:11], -v[75:76]
	s_delay_alu instid0(VALU_DEP_3) | instskip(SKIP_1) | instid1(VALU_DEP_3)
	v_fma_f64 v[77:78], v[85:86], v[0:1], v[77:78]
	v_mul_f64_e32 v[0:1], v[87:88], v[0:1]
	v_fma_f64 v[103:104], v[10:11], 2.0, -v[75:76]
	s_delay_alu instid0(VALU_DEP_3) | instskip(NEXT) | instid1(VALU_DEP_3)
	v_add_f64_e64 v[77:78], v[25:26], -v[77:78]
	v_fma_f64 v[79:80], v[85:86], v[2:3], -v[0:1]
	ds_load_b128 v[0:3], v186 offset:36864
	s_wait_dscnt 0x0
	v_mul_f64_e32 v[81:82], v[91:92], v[2:3]
	v_fma_f64 v[8:9], v[25:26], 2.0, -v[77:78]
	v_add_f64_e64 v[79:80], v[27:28], -v[79:80]
	v_add_f64_e64 v[77:78], v[75:76], -v[77:78]
	s_delay_alu instid0(VALU_DEP_4) | instskip(SKIP_1) | instid1(VALU_DEP_4)
	v_fma_f64 v[81:82], v[89:90], v[0:1], v[81:82]
	v_mul_f64_e32 v[0:1], v[91:92], v[0:1]
	v_fma_f64 v[10:11], v[27:28], 2.0, -v[79:80]
	v_add_f64_e32 v[79:80], v[73:74], v[79:80]
	v_fma_f64 v[75:76], v[75:76], 2.0, -v[77:78]
	v_add_f64_e64 v[81:82], v[4:5], -v[81:82]
	v_fma_f64 v[83:84], v[89:90], v[2:3], -v[0:1]
	ds_load_b128 v[0:3], v186 offset:53248
	v_fma_f64 v[73:74], v[73:74], 2.0, -v[79:80]
	s_wait_dscnt 0x0
	v_mul_f64_e32 v[85:86], v[95:96], v[2:3]
	v_fma_f64 v[25:26], v[4:5], 2.0, -v[81:82]
	v_add_f64_e64 v[83:84], v[6:7], -v[83:84]
	s_delay_alu instid0(VALU_DEP_3) | instskip(SKIP_1) | instid1(VALU_DEP_3)
	v_fma_f64 v[85:86], v[93:94], v[0:1], v[85:86]
	v_mul_f64_e32 v[0:1], v[95:96], v[0:1]
	v_fma_f64 v[27:28], v[6:7], 2.0, -v[83:84]
	s_delay_alu instid0(VALU_DEP_3) | instskip(NEXT) | instid1(VALU_DEP_3)
	v_add_f64_e64 v[85:86], v[21:22], -v[85:86]
	v_fma_f64 v[87:88], v[93:94], v[2:3], -v[0:1]
	ds_load_b128 v[0:3], v186 offset:45056
	s_wait_dscnt 0x0
	v_mul_f64_e32 v[89:90], v[99:100], v[2:3]
	v_fma_f64 v[4:5], v[21:22], 2.0, -v[85:86]
	v_add_f64_e64 v[87:88], v[23:24], -v[87:88]
	v_add_f64_e64 v[85:86], v[83:84], -v[85:86]
	s_delay_alu instid0(VALU_DEP_4)
	v_fma_f64 v[89:90], v[97:98], v[0:1], v[89:90]
	v_mul_f64_e32 v[0:1], v[99:100], v[0:1]
	v_add_f64_e64 v[109:110], v[25:26], -v[4:5]
	v_fma_f64 v[6:7], v[23:24], 2.0, -v[87:88]
	v_add_f64_e32 v[87:88], v[81:82], v[87:88]
	v_add_f64_e64 v[89:90], v[12:13], -v[89:90]
	v_fma_f64 v[91:92], v[97:98], v[2:3], -v[0:1]
	ds_load_b128 v[0:3], v186 offset:61440
	v_fma_f64 v[25:26], v[25:26], 2.0, -v[109:110]
	v_add_f64_e64 v[111:112], v[27:28], -v[6:7]
	s_wait_dscnt 0x0
	v_mul_f64_e32 v[93:94], v[107:108], v[0:1]
	v_fma_f64 v[21:22], v[12:13], 2.0, -v[89:90]
	v_add_f64_e64 v[91:92], v[14:15], -v[91:92]
	s_delay_alu instid0(VALU_DEP_4) | instskip(NEXT) | instid1(VALU_DEP_4)
	v_fma_f64 v[27:28], v[27:28], 2.0, -v[111:112]
	v_fma_f64 v[93:94], v[105:106], v[2:3], -v[93:94]
	v_mul_f64_e32 v[2:3], v[107:108], v[2:3]
	v_add_f64_e64 v[107:108], v[103:104], -v[10:11]
	v_fma_f64 v[23:24], v[14:15], 2.0, -v[91:92]
	s_delay_alu instid0(VALU_DEP_4) | instskip(NEXT) | instid1(VALU_DEP_4)
	v_add_f64_e64 v[93:94], v[31:32], -v[93:94]
	v_fma_f64 v[95:96], v[105:106], v[0:1], v[2:3]
	ds_load_b128 v[0:3], v186
	v_add_f64_e64 v[105:106], v[101:102], -v[8:9]
	global_wb scope:SCOPE_SE
	s_wait_dscnt 0x0
	s_barrier_signal -1
	s_barrier_wait -1
	global_inv scope:SCOPE_SE
	v_add_f64_e64 v[35:36], v[2:3], -v[35:36]
	v_add_f64_e64 v[33:34], v[0:1], -v[33:34]
	v_fma_f64 v[12:13], v[31:32], 2.0, -v[93:94]
	v_add_f64_e64 v[95:96], v[29:30], -v[95:96]
	v_add_f64_e32 v[93:94], v[89:90], v[93:94]
	v_fma_f64 v[99:100], v[2:3], 2.0, -v[35:36]
	v_fma_f64 v[2:3], v[18:19], 2.0, -v[67:68]
	;; [unrolled: 1-line block ×4, first 2 shown]
	v_add_f64_e32 v[121:122], v[33:34], v[67:68]
	v_add_f64_e64 v[123:124], v[35:36], -v[65:66]
	v_add_f64_e64 v[113:114], v[23:24], -v[12:13]
	v_fma_f64 v[14:15], v[29:30], 2.0, -v[95:96]
	v_add_f64_e64 v[95:96], v[91:92], -v[95:96]
	v_add_f64_e64 v[31:32], v[99:100], -v[2:3]
	;; [unrolled: 1-line block ×3, first 2 shown]
	v_fma_f64 v[33:34], v[33:34], 2.0, -v[121:122]
	v_fma_f64 v[35:36], v[35:36], 2.0, -v[123:124]
	v_add_f64_e32 v[4:5], v[109:110], v[113:114]
	v_add_f64_e64 v[115:116], v[21:22], -v[14:15]
	v_fma_f64 v[23:24], v[23:24], 2.0, -v[113:114]
	v_add_f64_e64 v[18:19], v[31:32], -v[105:106]
	v_add_f64_e32 v[16:17], v[29:30], v[107:108]
	v_fma_f64 v[8:9], v[109:110], 2.0, -v[4:5]
	v_add_f64_e64 v[6:7], v[111:112], -v[115:116]
	v_fma_f64 v[21:22], v[21:22], 2.0, -v[115:116]
	v_add_f64_e64 v[23:24], v[27:28], -v[23:24]
	v_fma_f64 v[119:120], v[31:32], 2.0, -v[18:19]
	v_fma_f64 v[31:32], v[99:100], 2.0, -v[31:32]
	v_fma_f64 v[0:1], v[4:5], s[12:13], v[16:17]
	v_fma_f64 v[117:118], v[29:30], 2.0, -v[16:17]
	v_fma_f64 v[29:30], v[97:98], 2.0, -v[29:30]
	v_fma_f64 v[2:3], v[6:7], s[12:13], v[18:19]
	v_add_f64_e64 v[21:22], v[25:26], -v[21:22]
	v_fma_f64 v[0:1], v[6:7], s[12:13], v[0:1]
	s_delay_alu instid0(VALU_DEP_3) | instskip(SKIP_2) | instid1(VALU_DEP_4)
	v_fma_f64 v[2:3], v[4:5], s[2:3], v[2:3]
	v_fma_f64 v[4:5], v[111:112], 2.0, -v[6:7]
	v_fma_f64 v[6:7], v[8:9], s[2:3], v[117:118]
	v_fma_f64 v[16:17], v[16:17], 2.0, -v[0:1]
	s_delay_alu instid0(VALU_DEP_4) | instskip(NEXT) | instid1(VALU_DEP_4)
	v_fma_f64 v[18:19], v[18:19], 2.0, -v[2:3]
	v_fma_f64 v[10:11], v[4:5], s[2:3], v[119:120]
	s_delay_alu instid0(VALU_DEP_4) | instskip(NEXT) | instid1(VALU_DEP_2)
	v_fma_f64 v[4:5], v[4:5], s[12:13], v[6:7]
	v_fma_f64 v[6:7], v[8:9], s[2:3], v[10:11]
	;; [unrolled: 1-line block ×3, first 2 shown]
	s_delay_alu instid0(VALU_DEP_1) | instskip(SKIP_2) | instid1(VALU_DEP_3)
	v_fma_f64 v[65:66], v[77:78], s[12:13], v[8:9]
	v_fma_f64 v[8:9], v[77:78], s[12:13], v[123:124]
	v_fma_f64 v[77:78], v[83:84], 2.0, -v[85:86]
	v_fma_f64 v[127:128], v[121:122], 2.0, -v[65:66]
	s_delay_alu instid0(VALU_DEP_3) | instskip(SKIP_2) | instid1(VALU_DEP_3)
	v_fma_f64 v[67:68], v[79:80], s[2:3], v[8:9]
	v_fma_f64 v[8:9], v[93:94], s[12:13], v[87:88]
	v_fma_f64 v[79:80], v[91:92], 2.0, -v[95:96]
	v_fma_f64 v[187:188], v[123:124], 2.0, -v[67:68]
	s_delay_alu instid0(VALU_DEP_3) | instskip(SKIP_1) | instid1(VALU_DEP_2)
	v_fma_f64 v[12:13], v[95:96], s[12:13], v[8:9]
	v_fma_f64 v[8:9], v[95:96], s[12:13], v[85:86]
	v_fma_f64 v[125:126], v[87:88], 2.0, -v[12:13]
	s_delay_alu instid0(VALU_DEP_2) | instskip(SKIP_1) | instid1(VALU_DEP_2)
	v_fma_f64 v[14:15], v[93:94], s[2:3], v[8:9]
	v_fma_f64 v[8:9], v[12:13], s[20:21], v[65:66]
	;; [unrolled: 1-line block ×3, first 2 shown]
	s_delay_alu instid0(VALU_DEP_2) | instskip(NEXT) | instid1(VALU_DEP_2)
	v_fma_f64 v[8:9], v[14:15], s[18:19], v[8:9]
	v_fma_f64 v[10:11], v[12:13], s[14:15], v[10:11]
	ds_store_b128 v255, v[0:3] offset:3584
	v_fma_f64 v[0:1], v[65:66], 2.0, -v[8:9]
	v_fma_f64 v[12:13], v[85:86], 2.0, -v[14:15]
	v_fma_f64 v[14:15], v[125:126], s[14:15], v[127:128]
	ds_store_b128 v255, v[8:11] offset:3840
	v_fma_f64 v[2:3], v[67:68], 2.0, -v[10:11]
	v_fma_f64 v[8:9], v[101:102], 2.0, -v[105:106]
	;; [unrolled: 1-line block ×3, first 2 shown]
	v_fma_f64 v[189:190], v[12:13], s[14:15], v[187:188]
	v_fma_f64 v[12:13], v[12:13], s[20:21], v[14:15]
	s_delay_alu instid0(VALU_DEP_4) | instskip(NEXT) | instid1(VALU_DEP_4)
	v_add_f64_e64 v[97:98], v[29:30], -v[8:9]
	v_add_f64_e64 v[99:100], v[31:32], -v[10:11]
	s_delay_alu instid0(VALU_DEP_4) | instskip(NEXT) | instid1(VALU_DEP_3)
	v_fma_f64 v[14:15], v[125:126], s[16:17], v[189:190]
	v_add_f64_e32 v[8:9], v[97:98], v[23:24]
	s_delay_alu instid0(VALU_DEP_3) | instskip(NEXT) | instid1(VALU_DEP_2)
	v_add_f64_e64 v[10:11], v[99:100], -v[21:22]
	v_fma_f64 v[65:66], v[97:98], 2.0, -v[8:9]
	s_delay_alu instid0(VALU_DEP_2)
	v_fma_f64 v[67:68], v[99:100], 2.0, -v[10:11]
	ds_store_b128 v255, v[8:11] offset:3072
	v_fma_f64 v[8:9], v[81:82], 2.0, -v[87:88]
	v_fma_f64 v[10:11], v[89:90], 2.0, -v[93:94]
	ds_store_b128 v255, v[16:19] offset:1536
	ds_store_b128 v255, v[0:3] offset:1792
	v_fma_f64 v[0:1], v[117:118], 2.0, -v[4:5]
	v_fma_f64 v[2:3], v[119:120], 2.0, -v[6:7]
	ds_store_b128 v255, v[4:7] offset:2560
	ds_store_b128 v255, v[12:15] offset:2816
	v_fma_f64 v[4:5], v[127:128], 2.0, -v[12:13]
	v_fma_f64 v[6:7], v[187:188], 2.0, -v[14:15]
	;; [unrolled: 1-line block ×4, first 2 shown]
	v_fma_f64 v[81:82], v[10:11], s[2:3], v[8:9]
	s_delay_alu instid0(VALU_DEP_1) | instskip(SKIP_1) | instid1(VALU_DEP_1)
	v_fma_f64 v[81:82], v[79:80], s[12:13], v[81:82]
	v_fma_f64 v[79:80], v[79:80], s[2:3], v[77:78]
	;; [unrolled: 1-line block ×4, first 2 shown]
	s_delay_alu instid0(VALU_DEP_1) | instskip(SKIP_1) | instid1(VALU_DEP_2)
	v_fma_f64 v[83:84], v[73:74], s[2:3], v[10:11]
	v_fma_f64 v[10:11], v[73:74], s[2:3], v[33:34]
	v_fma_f64 v[35:36], v[35:36], 2.0, -v[83:84]
	s_delay_alu instid0(VALU_DEP_2) | instskip(SKIP_2) | instid1(VALU_DEP_3)
	v_fma_f64 v[85:86], v[75:76], s[12:13], v[10:11]
	v_fma_f64 v[75:76], v[8:9], 2.0, -v[81:82]
	v_fma_f64 v[8:9], v[79:80], s[18:19], v[83:84]
	v_fma_f64 v[73:74], v[81:82], s[18:19], v[85:86]
	v_fma_f64 v[33:34], v[33:34], 2.0, -v[85:86]
	s_delay_alu instid0(VALU_DEP_3) | instskip(NEXT) | instid1(VALU_DEP_3)
	v_fma_f64 v[10:11], v[81:82], s[16:17], v[8:9]
	v_fma_f64 v[8:9], v[79:80], s[20:21], v[73:74]
	v_fma_f64 v[73:74], v[77:78], 2.0, -v[79:80]
	s_delay_alu instid0(VALU_DEP_3)
	v_fma_f64 v[14:15], v[83:84], 2.0, -v[10:11]
	ds_store_b128 v255, v[8:11] offset:3328
	ds_store_b128 v255, v[65:68] offset:1024
	v_fma_f64 v[12:13], v[85:86], 2.0, -v[8:9]
	v_fma_f64 v[8:9], v[25:26], 2.0, -v[21:22]
	;; [unrolled: 1-line block ×3, first 2 shown]
	v_fma_f64 v[77:78], v[75:76], s[16:17], v[33:34]
	v_fma_f64 v[79:80], v[73:74], s[16:17], v[35:36]
	s_delay_alu instid0(VALU_DEP_4) | instskip(NEXT) | instid1(VALU_DEP_4)
	v_add_f64_e64 v[8:9], v[16:17], -v[8:9]
	v_add_f64_e64 v[10:11], v[18:19], -v[10:11]
	s_delay_alu instid0(VALU_DEP_4) | instskip(NEXT) | instid1(VALU_DEP_4)
	v_fma_f64 v[73:74], v[73:74], s[18:19], v[77:78]
	v_fma_f64 v[75:76], v[75:76], s[14:15], v[79:80]
	ds_store_b128 v255, v[8:11] offset:2048
	ds_store_b128 v255, v[0:3] offset:512
	;; [unrolled: 1-line block ×4, first 2 shown]
	v_fma_f64 v[16:17], v[16:17], 2.0, -v[8:9]
	v_fma_f64 v[18:19], v[18:19], 2.0, -v[10:11]
	;; [unrolled: 1-line block ×4, first 2 shown]
	ds_store_b128 v255, v[73:76] offset:2304
	ds_store_b128 v255, v[16:19]
	ds_store_b128 v255, v[0:3] offset:256
	global_wb scope:SCOPE_SE
	s_wait_dscnt 0x0
	s_barrier_signal -1
	s_barrier_wait -1
	global_inv scope:SCOPE_SE
	ds_load_b128 v[0:3], v186 offset:4096
	s_wait_dscnt 0x0
	v_mul_f64_e32 v[4:5], v[71:72], v[2:3]
	s_delay_alu instid0(VALU_DEP_1) | instskip(SKIP_1) | instid1(VALU_DEP_1)
	v_fma_f64 v[4:5], v[69:70], v[0:1], v[4:5]
	v_mul_f64_e32 v[0:1], v[71:72], v[0:1]
	v_fma_f64 v[6:7], v[69:70], v[2:3], -v[0:1]
	ds_load_b128 v[0:3], v186 offset:8192
	s_wait_dscnt 0x0
	v_mul_f64_e32 v[8:9], v[131:132], v[2:3]
	s_delay_alu instid0(VALU_DEP_1) | instskip(SKIP_1) | instid1(VALU_DEP_1)
	v_fma_f64 v[8:9], v[129:130], v[0:1], v[8:9]
	v_mul_f64_e32 v[0:1], v[131:132], v[0:1]
	v_fma_f64 v[10:11], v[129:130], v[2:3], -v[0:1]
	;; [unrolled: 7-line block ×10, first 2 shown]
	ds_load_b128 v[0:3], v186 offset:57344
	s_wait_dscnt 0x0
	v_mul_f64_e32 v[65:66], v[183:184], v[2:3]
	s_delay_alu instid0(VALU_DEP_1) | instskip(SKIP_1) | instid1(VALU_DEP_2)
	v_fma_f64 v[77:78], v[181:182], v[0:1], v[65:66]
	v_mul_f64_e32 v[0:1], v[183:184], v[0:1]
	v_add_f64_e64 v[109:110], v[25:26], -v[77:78]
	s_delay_alu instid0(VALU_DEP_2) | instskip(SKIP_4) | instid1(VALU_DEP_2)
	v_fma_f64 v[79:80], v[181:182], v[2:3], -v[0:1]
	ds_load_b128 v[0:3], v186 offset:36864
	s_wait_dscnt 0x0
	v_mul_f64_e32 v[65:66], v[139:140], v[2:3]
	v_add_f64_e64 v[111:112], v[27:28], -v[79:80]
	v_fma_f64 v[85:86], v[137:138], v[0:1], v[65:66]
	v_mul_f64_e32 v[0:1], v[139:140], v[0:1]
	s_delay_alu instid0(VALU_DEP_2) | instskip(NEXT) | instid1(VALU_DEP_2)
	v_add_f64_e64 v[77:78], v[4:5], -v[85:86]
	v_fma_f64 v[87:88], v[137:138], v[2:3], -v[0:1]
	ds_load_b128 v[0:3], v186 offset:53248
	s_wait_dscnt 0x0
	v_mul_f64_e32 v[65:66], v[171:172], v[2:3]
	s_delay_alu instid0(VALU_DEP_1) | instskip(SKIP_1) | instid1(VALU_DEP_2)
	v_fma_f64 v[89:90], v[169:170], v[0:1], v[65:66]
	v_mul_f64_e32 v[0:1], v[171:172], v[0:1]
	v_add_f64_e64 v[113:114], v[21:22], -v[89:90]
	s_delay_alu instid0(VALU_DEP_2)
	v_fma_f64 v[91:92], v[169:170], v[2:3], -v[0:1]
	ds_load_b128 v[0:3], v186 offset:45056
	v_fma_f64 v[89:90], v[4:5], 2.0, -v[77:78]
	s_wait_dscnt 0x0
	v_mul_f64_e32 v[65:66], v[151:152], v[2:3]
	v_fma_f64 v[4:5], v[21:22], 2.0, -v[113:114]
	v_add_f64_e64 v[115:116], v[23:24], -v[91:92]
	s_delay_alu instid0(VALU_DEP_3) | instskip(SKIP_1) | instid1(VALU_DEP_4)
	v_fma_f64 v[93:94], v[149:150], v[0:1], v[65:66]
	v_mul_f64_e32 v[0:1], v[151:152], v[0:1]
	v_add_f64_e64 v[105:106], v[89:90], -v[4:5]
	s_delay_alu instid0(VALU_DEP_3) | instskip(NEXT) | instid1(VALU_DEP_3)
	v_add_f64_e64 v[79:80], v[12:13], -v[93:94]
	v_fma_f64 v[95:96], v[149:150], v[2:3], -v[0:1]
	ds_load_b128 v[0:3], v186 offset:61440
	s_wait_dscnt 0x0
	v_mul_f64_e32 v[65:66], v[175:176], v[0:1]
	v_fma_f64 v[93:94], v[12:13], 2.0, -v[79:80]
	s_delay_alu instid0(VALU_DEP_2) | instskip(SKIP_1) | instid1(VALU_DEP_2)
	v_fma_f64 v[97:98], v[173:174], v[2:3], -v[65:66]
	v_mul_f64_e32 v[2:3], v[175:176], v[2:3]
	v_add_f64_e64 v[117:118], v[31:32], -v[97:98]
	s_delay_alu instid0(VALU_DEP_2)
	v_fma_f64 v[99:100], v[173:174], v[0:1], v[2:3]
	ds_load_b128 v[0:3], v186
	s_wait_dscnt 0x0
	v_add_f64_e64 v[65:66], v[0:1], -v[33:34]
	v_add_f64_e64 v[67:68], v[2:3], -v[35:36]
	;; [unrolled: 1-line block ×8, first 2 shown]
	v_fma_f64 v[12:13], v[31:32], 2.0, -v[117:118]
	v_add_f64_e64 v[119:120], v[29:30], -v[99:100]
	v_fma_f64 v[81:82], v[0:1], 2.0, -v[65:66]
	v_fma_f64 v[83:84], v[2:3], 2.0, -v[67:68]
	;; [unrolled: 1-line block ×11, first 2 shown]
	v_add_f64_e32 v[31:32], v[69:70], v[111:112]
	v_add_f64_e64 v[33:34], v[67:68], -v[33:34]
	v_add_f64_e64 v[111:112], v[73:74], -v[113:114]
	v_add_f64_e32 v[113:114], v[79:80], v[117:118]
	v_fma_f64 v[14:15], v[29:30], 2.0, -v[119:120]
	v_add_f64_e32 v[29:30], v[65:66], v[35:36]
	v_add_f64_e64 v[35:36], v[71:72], -v[109:110]
	v_add_f64_e32 v[109:110], v[77:78], v[115:116]
	v_add_f64_e64 v[115:116], v[75:76], -v[119:120]
	v_add_f64_e64 v[97:98], v[81:82], -v[0:1]
	;; [unrolled: 1-line block ×9, first 2 shown]
	s_delay_alu instid0(VALU_DEP_4)
	v_add_f64_e32 v[4:5], v[105:106], v[21:22]
	v_fma_f64 v[21:22], v[95:96], 2.0, -v[21:22]
	v_add_f64_e32 v[16:17], v[97:98], v[103:104]
	v_add_f64_e64 v[6:7], v[107:108], -v[23:24]
	v_fma_f64 v[23:24], v[93:94], 2.0, -v[23:24]
	v_fma_f64 v[27:28], v[99:100], 2.0, -v[18:19]
	v_fma_f64 v[99:100], v[83:84], 2.0, -v[99:100]
	v_fma_f64 v[8:9], v[105:106], 2.0, -v[4:5]
	v_fma_f64 v[0:1], v[4:5], s[12:13], v[16:17]
	v_fma_f64 v[25:26], v[97:98], 2.0, -v[16:17]
	v_fma_f64 v[97:98], v[81:82], 2.0, -v[97:98]
	v_fma_f64 v[2:3], v[6:7], s[12:13], v[18:19]
	s_delay_alu instid0(VALU_DEP_4) | instskip(NEXT) | instid1(VALU_DEP_2)
	v_fma_f64 v[0:1], v[6:7], s[12:13], v[0:1]
	v_fma_f64 v[2:3], v[4:5], s[2:3], v[2:3]
	v_fma_f64 v[4:5], v[107:108], 2.0, -v[6:7]
	v_fma_f64 v[6:7], v[8:9], s[2:3], v[25:26]
	s_delay_alu instid0(VALU_DEP_4) | instskip(NEXT) | instid1(VALU_DEP_4)
	v_fma_f64 v[16:17], v[16:17], 2.0, -v[0:1]
	v_fma_f64 v[18:19], v[18:19], 2.0, -v[2:3]
	s_delay_alu instid0(VALU_DEP_4) | instskip(NEXT) | instid1(VALU_DEP_4)
	v_fma_f64 v[10:11], v[4:5], s[2:3], v[27:28]
	v_fma_f64 v[4:5], v[4:5], s[12:13], v[6:7]
	s_delay_alu instid0(VALU_DEP_2) | instskip(SKIP_1) | instid1(VALU_DEP_1)
	v_fma_f64 v[6:7], v[8:9], s[2:3], v[10:11]
	v_fma_f64 v[8:9], v[31:32], s[12:13], v[29:30]
	;; [unrolled: 1-line block ×4, first 2 shown]
	v_fma_f64 v[35:36], v[71:72], 2.0, -v[35:36]
	s_delay_alu instid0(VALU_DEP_3) | instskip(NEXT) | instid1(VALU_DEP_3)
	v_fma_f64 v[123:124], v[29:30], 2.0, -v[117:118]
	v_fma_f64 v[119:120], v[31:32], s[2:3], v[8:9]
	v_fma_f64 v[8:9], v[113:114], s[12:13], v[109:110]
	v_fma_f64 v[29:30], v[65:66], 2.0, -v[29:30]
	v_fma_f64 v[31:32], v[69:70], 2.0, -v[31:32]
	;; [unrolled: 1-line block ×4, first 2 shown]
	v_fma_f64 v[12:13], v[115:116], s[12:13], v[8:9]
	v_fma_f64 v[8:9], v[115:116], s[12:13], v[111:112]
	v_fma_f64 v[33:34], v[67:68], 2.0, -v[33:34]
	v_fma_f64 v[67:68], v[75:76], 2.0, -v[115:116]
	s_delay_alu instid0(VALU_DEP_4) | instskip(NEXT) | instid1(VALU_DEP_4)
	v_fma_f64 v[121:122], v[109:110], 2.0, -v[12:13]
	v_fma_f64 v[14:15], v[113:114], s[2:3], v[8:9]
	v_fma_f64 v[8:9], v[12:13], s[20:21], v[117:118]
	s_delay_alu instid0(VALU_DEP_2) | instskip(NEXT) | instid1(VALU_DEP_2)
	v_fma_f64 v[10:11], v[14:15], s[20:21], v[119:120]
	v_fma_f64 v[8:9], v[14:15], s[18:19], v[8:9]
	s_delay_alu instid0(VALU_DEP_2)
	v_fma_f64 v[10:11], v[12:13], s[14:15], v[10:11]
	ds_store_b128 v186, v[0:3] offset:57344
	v_fma_f64 v[0:1], v[117:118], 2.0, -v[8:9]
	v_fma_f64 v[12:13], v[111:112], 2.0, -v[14:15]
	v_fma_f64 v[14:15], v[121:122], s[14:15], v[123:124]
	ds_store_b128 v186, v[8:11] offset:61440
	v_fma_f64 v[2:3], v[119:120], 2.0, -v[10:11]
	v_fma_f64 v[8:9], v[85:86], 2.0, -v[101:102]
	;; [unrolled: 1-line block ×5, first 2 shown]
	v_fma_f64 v[127:128], v[12:13], s[14:15], v[125:126]
	v_fma_f64 v[12:13], v[12:13], s[20:21], v[14:15]
	v_add_f64_e64 v[89:90], v[97:98], -v[8:9]
	v_add_f64_e64 v[91:92], v[99:100], -v[10:11]
	;; [unrolled: 1-line block ×4, first 2 shown]
	v_fma_f64 v[14:15], v[121:122], s[16:17], v[127:128]
	s_delay_alu instid0(VALU_DEP_3) | instskip(NEXT) | instid1(VALU_DEP_3)
	v_add_f64_e64 v[10:11], v[91:92], -v[23:24]
	v_add_f64_e32 v[8:9], v[89:90], v[21:22]
	s_delay_alu instid0(VALU_DEP_2) | instskip(NEXT) | instid1(VALU_DEP_2)
	v_fma_f64 v[83:84], v[91:92], 2.0, -v[10:11]
	v_fma_f64 v[81:82], v[89:90], 2.0, -v[8:9]
	ds_store_b128 v186, v[8:11] offset:49152
	v_fma_f64 v[8:9], v[77:78], 2.0, -v[109:110]
	v_fma_f64 v[10:11], v[79:80], 2.0, -v[113:114]
	ds_store_b128 v186, v[16:19] offset:24576
	ds_store_b128 v186, v[0:3] offset:28672
	v_fma_f64 v[0:1], v[25:26], 2.0, -v[4:5]
	v_fma_f64 v[2:3], v[27:28], 2.0, -v[6:7]
	ds_store_b128 v186, v[4:7] offset:40960
	ds_store_b128 v186, v[12:15] offset:45056
	v_fma_f64 v[4:5], v[123:124], 2.0, -v[12:13]
	v_fma_f64 v[6:7], v[125:126], 2.0, -v[14:15]
	;; [unrolled: 1-line block ×4, first 2 shown]
	v_fma_f64 v[69:70], v[10:11], s[2:3], v[8:9]
	s_delay_alu instid0(VALU_DEP_1) | instskip(SKIP_1) | instid1(VALU_DEP_1)
	v_fma_f64 v[69:70], v[67:68], s[12:13], v[69:70]
	v_fma_f64 v[67:68], v[67:68], s[2:3], v[65:66]
	v_fma_f64 v[67:68], v[10:11], s[2:3], v[67:68]
	v_fma_f64 v[10:11], v[35:36], s[2:3], v[33:34]
	s_delay_alu instid0(VALU_DEP_2) | instskip(NEXT) | instid1(VALU_DEP_2)
	v_fma_f64 v[65:66], v[65:66], 2.0, -v[67:68]
	v_fma_f64 v[71:72], v[31:32], s[2:3], v[10:11]
	v_fma_f64 v[10:11], v[31:32], s[2:3], v[29:30]
	s_delay_alu instid0(VALU_DEP_2) | instskip(NEXT) | instid1(VALU_DEP_2)
	v_fma_f64 v[33:34], v[33:34], 2.0, -v[71:72]
	v_fma_f64 v[31:32], v[35:36], s[12:13], v[10:11]
	v_fma_f64 v[35:36], v[8:9], 2.0, -v[69:70]
	v_fma_f64 v[8:9], v[67:68], s[18:19], v[71:72]
	s_delay_alu instid0(VALU_DEP_3) | instskip(SKIP_1) | instid1(VALU_DEP_3)
	v_fma_f64 v[73:74], v[69:70], s[18:19], v[31:32]
	v_fma_f64 v[29:30], v[29:30], 2.0, -v[31:32]
	v_fma_f64 v[10:11], v[69:70], s[16:17], v[8:9]
	v_fma_f64 v[69:70], v[65:66], s[16:17], v[33:34]
	s_delay_alu instid0(VALU_DEP_4)
	v_fma_f64 v[8:9], v[67:68], s[20:21], v[73:74]
	ds_store_b128 v186, v[8:11] offset:53248
	ds_store_b128 v186, v[81:84] offset:16384
	v_fma_f64 v[12:13], v[31:32], 2.0, -v[8:9]
	v_fma_f64 v[14:15], v[71:72], 2.0, -v[10:11]
	;; [unrolled: 1-line block ×4, first 2 shown]
	v_fma_f64 v[67:68], v[35:36], s[16:17], v[29:30]
	s_delay_alu instid0(VALU_DEP_3) | instskip(NEXT) | instid1(VALU_DEP_3)
	v_add_f64_e64 v[8:9], v[16:17], -v[8:9]
	v_add_f64_e64 v[10:11], v[18:19], -v[10:11]
	s_delay_alu instid0(VALU_DEP_3)
	v_fma_f64 v[65:66], v[65:66], s[18:19], v[67:68]
	v_fma_f64 v[67:68], v[35:36], s[14:15], v[69:70]
	ds_store_b128 v186, v[8:11] offset:32768
	ds_store_b128 v186, v[0:3] offset:8192
	;; [unrolled: 1-line block ×4, first 2 shown]
	v_fma_f64 v[16:17], v[16:17], 2.0, -v[8:9]
	v_fma_f64 v[18:19], v[18:19], 2.0, -v[10:11]
	v_fma_f64 v[0:1], v[29:30], 2.0, -v[65:66]
	v_fma_f64 v[2:3], v[33:34], 2.0, -v[67:68]
	ds_store_b128 v186, v[65:68] offset:36864
	ds_store_b128 v186, v[16:19]
	ds_store_b128 v186, v[0:3] offset:4096
	global_wb scope:SCOPE_SE
	s_wait_dscnt 0x0
	s_barrier_signal -1
	s_barrier_wait -1
	global_inv scope:SCOPE_SE
	s_clause 0x5
	scratch_load_b128 v[6:9], off, off offset:136 th:TH_LOAD_LU
	scratch_load_b128 v[65:68], off, off offset:104 th:TH_LOAD_LU
	scratch_load_b128 v[10:13], off, off offset:8 th:TH_LOAD_LU
	scratch_load_b128 v[14:17], off, off offset:24 th:TH_LOAD_LU
	scratch_load_b128 v[21:24], off, off offset:40 th:TH_LOAD_LU
	scratch_load_b128 v[27:30], off, off offset:72 th:TH_LOAD_LU
	ds_load_b128 v[0:3], v186
	scratch_load_b128 v[31:34], off, off offset:88 th:TH_LOAD_LU ; 16-byte Folded Reload
	s_wait_loadcnt_dscnt 0x600
	v_mul_f64_e32 v[4:5], v[8:9], v[2:3]
	s_delay_alu instid0(VALU_DEP_1) | instskip(SKIP_1) | instid1(VALU_DEP_1)
	v_fma_f64 v[4:5], v[6:7], v[0:1], v[4:5]
	v_mul_f64_e32 v[0:1], v[8:9], v[0:1]
	v_fma_f64 v[6:7], v[6:7], v[2:3], -v[0:1]
	ds_load_b128 v[0:3], v186 offset:4096
	s_wait_loadcnt_dscnt 0x400
	v_mul_f64_e32 v[8:9], v[12:13], v[2:3]
	s_delay_alu instid0(VALU_DEP_1) | instskip(SKIP_1) | instid1(VALU_DEP_1)
	v_fma_f64 v[8:9], v[10:11], v[0:1], v[8:9]
	v_mul_f64_e32 v[0:1], v[12:13], v[0:1]
	v_fma_f64 v[10:11], v[10:11], v[2:3], -v[0:1]
	ds_load_b128 v[0:3], v186 offset:8192
	;; [unrolled: 7-line block ×3, first 2 shown]
	s_wait_loadcnt_dscnt 0x200
	v_mul_f64_e32 v[16:17], v[23:24], v[2:3]
	s_delay_alu instid0(VALU_DEP_1)
	v_fma_f64 v[16:17], v[21:22], v[0:1], v[16:17]
	v_mul_f64_e32 v[0:1], v[23:24], v[0:1]
	scratch_load_b128 v[23:26], off, off offset:56 th:TH_LOAD_LU ; 16-byte Folded Reload
	v_fma_f64 v[18:19], v[21:22], v[2:3], -v[0:1]
	ds_load_b128 v[0:3], v186 offset:16384
	s_wait_loadcnt_dscnt 0x0
	v_mul_f64_e32 v[21:22], v[25:26], v[2:3]
	s_delay_alu instid0(VALU_DEP_1) | instskip(SKIP_1) | instid1(VALU_DEP_1)
	v_fma_f64 v[21:22], v[23:24], v[0:1], v[21:22]
	v_mul_f64_e32 v[0:1], v[25:26], v[0:1]
	v_fma_f64 v[23:24], v[23:24], v[2:3], -v[0:1]
	ds_load_b128 v[0:3], v186 offset:20480
	s_wait_dscnt 0x0
	v_mul_f64_e32 v[25:26], v[29:30], v[2:3]
	s_delay_alu instid0(VALU_DEP_1) | instskip(SKIP_1) | instid1(VALU_DEP_1)
	v_fma_f64 v[25:26], v[27:28], v[0:1], v[25:26]
	v_mul_f64_e32 v[0:1], v[29:30], v[0:1]
	v_fma_f64 v[27:28], v[27:28], v[2:3], -v[0:1]
	ds_load_b128 v[0:3], v186 offset:24576
	s_wait_dscnt 0x0
	;; [unrolled: 7-line block ×3, first 2 shown]
	v_mul_f64_e32 v[33:34], v[67:68], v[2:3]
	s_delay_alu instid0(VALU_DEP_1)
	v_fma_f64 v[33:34], v[65:66], v[0:1], v[33:34]
	v_mul_f64_e32 v[0:1], v[67:68], v[0:1]
	scratch_load_b128 v[67:70], off, off offset:120 th:TH_LOAD_LU ; 16-byte Folded Reload
	v_fma_f64 v[35:36], v[65:66], v[2:3], -v[0:1]
	ds_load_b128 v[0:3], v186 offset:32768
	s_wait_loadcnt_dscnt 0x0
	v_mul_f64_e32 v[65:66], v[69:70], v[2:3]
	s_delay_alu instid0(VALU_DEP_1) | instskip(SKIP_1) | instid1(VALU_DEP_1)
	v_fma_f64 v[65:66], v[67:68], v[0:1], v[65:66]
	v_mul_f64_e32 v[0:1], v[69:70], v[0:1]
	v_fma_f64 v[67:68], v[67:68], v[2:3], -v[0:1]
	ds_load_b128 v[0:3], v186 offset:36864
	s_wait_dscnt 0x0
	v_mul_f64_e32 v[69:70], v[39:40], v[2:3]
	s_delay_alu instid0(VALU_DEP_1) | instskip(SKIP_1) | instid1(VALU_DEP_1)
	v_fma_f64 v[69:70], v[37:38], v[0:1], v[69:70]
	v_mul_f64_e32 v[0:1], v[39:40], v[0:1]
	v_fma_f64 v[37:38], v[37:38], v[2:3], -v[0:1]
	ds_load_b128 v[0:3], v186 offset:40960
	s_wait_dscnt 0x0
	v_mul_f64_e32 v[39:40], v[43:44], v[2:3]
	s_delay_alu instid0(VALU_DEP_1) | instskip(SKIP_1) | instid1(VALU_DEP_1)
	v_fma_f64 v[39:40], v[41:42], v[0:1], v[39:40]
	v_mul_f64_e32 v[0:1], v[43:44], v[0:1]
	v_fma_f64 v[41:42], v[41:42], v[2:3], -v[0:1]
	ds_load_b128 v[0:3], v186 offset:45056
	s_wait_dscnt 0x0
	v_mul_f64_e32 v[43:44], v[47:48], v[2:3]
	s_delay_alu instid0(VALU_DEP_1) | instskip(SKIP_1) | instid1(VALU_DEP_1)
	v_fma_f64 v[43:44], v[45:46], v[0:1], v[43:44]
	v_mul_f64_e32 v[0:1], v[47:48], v[0:1]
	v_fma_f64 v[45:46], v[45:46], v[2:3], -v[0:1]
	ds_load_b128 v[0:3], v186 offset:49152
	s_wait_dscnt 0x0
	v_mul_f64_e32 v[47:48], v[51:52], v[2:3]
	s_delay_alu instid0(VALU_DEP_1) | instskip(SKIP_1) | instid1(VALU_DEP_1)
	v_fma_f64 v[47:48], v[49:50], v[0:1], v[47:48]
	v_mul_f64_e32 v[0:1], v[51:52], v[0:1]
	v_fma_f64 v[49:50], v[49:50], v[2:3], -v[0:1]
	ds_load_b128 v[0:3], v186 offset:53248
	s_wait_dscnt 0x0
	v_mul_f64_e32 v[51:52], v[55:56], v[2:3]
	s_delay_alu instid0(VALU_DEP_1) | instskip(SKIP_1) | instid1(VALU_DEP_1)
	v_fma_f64 v[51:52], v[53:54], v[0:1], v[51:52]
	v_mul_f64_e32 v[0:1], v[55:56], v[0:1]
	v_fma_f64 v[53:54], v[53:54], v[2:3], -v[0:1]
	ds_load_b128 v[0:3], v186 offset:57344
	s_wait_dscnt 0x0
	v_mul_f64_e32 v[55:56], v[59:60], v[2:3]
	s_delay_alu instid0(VALU_DEP_1) | instskip(SKIP_1) | instid1(VALU_DEP_1)
	v_fma_f64 v[55:56], v[57:58], v[0:1], v[55:56]
	v_mul_f64_e32 v[0:1], v[59:60], v[0:1]
	v_fma_f64 v[57:58], v[57:58], v[2:3], -v[0:1]
	ds_load_b128 v[0:3], v186 offset:61440
	s_wait_dscnt 0x0
	v_mul_f64_e32 v[59:60], v[63:64], v[2:3]
	s_delay_alu instid0(VALU_DEP_1) | instskip(SKIP_1) | instid1(VALU_DEP_1)
	v_fma_f64 v[59:60], v[61:62], v[0:1], v[59:60]
	v_mul_f64_e32 v[0:1], v[63:64], v[0:1]
	v_fma_f64 v[61:62], v[61:62], v[2:3], -v[0:1]
	scratch_load_b64 v[2:3], off, off th:TH_LOAD_LU ; 8-byte Folded Reload
	s_wait_loadcnt 0x0
	v_mad_co_u64_u32 v[0:1], null, s6, v2, 0
	s_delay_alu instid0(VALU_DEP_1) | instskip(SKIP_1) | instid1(VALU_DEP_2)
	v_mad_co_u64_u32 v[1:2], null, s7, v2, v[1:2]
	v_mad_co_u64_u32 v[2:3], null, s4, v185, 0
	v_lshlrev_b64_e32 v[0:1], 4, v[0:1]
	s_delay_alu instid0(VALU_DEP_2) | instskip(NEXT) | instid1(VALU_DEP_2)
	v_mad_co_u64_u32 v[63:64], null, s5, v185, v[3:4]
	v_add_co_u32 v20, vcc_lo, s0, v0
	s_wait_alu 0xfffd
	s_delay_alu instid0(VALU_DEP_3) | instskip(NEXT) | instid1(VALU_DEP_3)
	v_add_co_ci_u32_e32 v64, vcc_lo, s1, v1, vcc_lo
	v_mov_b32_e32 v3, v63
	s_lshl_b64 s[0:1], s[4:5], 12
	s_delay_alu instid0(VALU_DEP_1) | instskip(SKIP_2) | instid1(VALU_DEP_3)
	v_lshlrev_b64_e32 v[0:1], 4, v[2:3]
	v_ldexp_f64 v[2:3], v[6:7], -12
	v_ldexp_f64 v[6:7], v[37:38], -12
	v_add_co_u32 v63, vcc_lo, v20, v0
	s_wait_alu 0xfffd
	s_delay_alu instid0(VALU_DEP_4)
	v_add_co_ci_u32_e32 v64, vcc_lo, v64, v1, vcc_lo
	v_ldexp_f64 v[0:1], v[4:5], -12
	s_wait_alu 0xfffe
	v_add_co_u32 v4, vcc_lo, v63, s0
	s_wait_alu 0xfffd
	v_add_co_ci_u32_e32 v5, vcc_lo, s1, v64, vcc_lo
	global_store_b128 v[63:64], v[0:3], off
	v_ldexp_f64 v[0:1], v[8:9], -12
	v_ldexp_f64 v[2:3], v[10:11], -12
	;; [unrolled: 1-line block ×3, first 2 shown]
	global_store_b128 v[4:5], v[0:3], off
	v_ldexp_f64 v[0:1], v[12:13], -12
	v_ldexp_f64 v[2:3], v[14:15], -12
	v_add_co_u32 v4, vcc_lo, v4, s0
	s_wait_alu 0xfffd
	v_add_co_ci_u32_e32 v5, vcc_lo, s1, v5, vcc_lo
	v_ldexp_f64 v[12:13], v[43:44], -12
	v_ldexp_f64 v[14:15], v[45:46], -12
	global_store_b128 v[4:5], v[0:3], off
	v_ldexp_f64 v[0:1], v[16:17], -12
	v_ldexp_f64 v[2:3], v[18:19], -12
	v_add_co_u32 v4, vcc_lo, v4, s0
	s_wait_alu 0xfffd
	v_add_co_ci_u32_e32 v5, vcc_lo, s1, v5, vcc_lo
	v_ldexp_f64 v[16:17], v[47:48], -12
	v_ldexp_f64 v[18:19], v[49:50], -12
	;; [unrolled: 8-line block ×4, first 2 shown]
	global_store_b128 v[4:5], v[0:3], off
	v_ldexp_f64 v[0:1], v[29:30], -12
	v_ldexp_f64 v[2:3], v[31:32], -12
	v_add_co_u32 v4, vcc_lo, v4, s0
	s_wait_alu 0xfffd
	v_add_co_ci_u32_e32 v5, vcc_lo, s1, v5, vcc_lo
	v_ldexp_f64 v[28:29], v[59:60], -12
	s_delay_alu instid0(VALU_DEP_3) | instskip(SKIP_1) | instid1(VALU_DEP_3)
	v_add_co_u32 v8, vcc_lo, v4, s0
	s_wait_alu 0xfffd
	v_add_co_ci_u32_e32 v9, vcc_lo, s1, v5, vcc_lo
	v_ldexp_f64 v[30:31], v[61:62], -12
	s_delay_alu instid0(VALU_DEP_3)
	v_add_co_u32 v32, vcc_lo, v8, s0
	global_store_b128 v[4:5], v[0:3], off
	v_ldexp_f64 v[0:1], v[33:34], -12
	v_ldexp_f64 v[2:3], v[35:36], -12
	v_ldexp_f64 v[4:5], v[69:70], -12
	s_wait_alu 0xfffd
	v_add_co_ci_u32_e32 v33, vcc_lo, s1, v9, vcc_lo
	v_add_co_u32 v34, vcc_lo, v32, s0
	s_wait_alu 0xfffd
	s_delay_alu instid0(VALU_DEP_2)
	v_add_co_ci_u32_e32 v35, vcc_lo, s1, v33, vcc_lo
	global_store_b128 v[8:9], v[0:3], off
	v_ldexp_f64 v[0:1], v[65:66], -12
	v_ldexp_f64 v[2:3], v[67:68], -12
	;; [unrolled: 1-line block ×3, first 2 shown]
	global_store_b128 v[32:33], v[0:3], off
	v_add_co_u32 v0, vcc_lo, v34, s0
	s_wait_alu 0xfffd
	v_add_co_ci_u32_e32 v1, vcc_lo, s1, v35, vcc_lo
	global_store_b128 v[34:35], v[4:7], off
	v_add_co_u32 v2, vcc_lo, v0, s0
	s_wait_alu 0xfffd
	v_add_co_ci_u32_e32 v3, vcc_lo, s1, v1, vcc_lo
	s_delay_alu instid0(VALU_DEP_2) | instskip(SKIP_1) | instid1(VALU_DEP_2)
	v_add_co_u32 v32, vcc_lo, v2, s0
	s_wait_alu 0xfffd
	v_add_co_ci_u32_e32 v33, vcc_lo, s1, v3, vcc_lo
	s_delay_alu instid0(VALU_DEP_2) | instskip(SKIP_1) | instid1(VALU_DEP_2)
	;; [unrolled: 4-line block ×4, first 2 shown]
	v_add_co_u32 v34, vcc_lo, v6, s0
	s_wait_alu 0xfffd
	v_add_co_ci_u32_e32 v35, vcc_lo, s1, v7, vcc_lo
	global_store_b128 v[0:1], v[8:11], off
	global_store_b128 v[2:3], v[12:15], off
	;; [unrolled: 1-line block ×6, first 2 shown]
.LBB0_2:
	s_nop 0
	s_sendmsg sendmsg(MSG_DEALLOC_VGPRS)
	s_endpgm
	.section	.rodata,"a",@progbits
	.p2align	6, 0x0
	.amdhsa_kernel bluestein_single_fwd_len4096_dim1_dp_op_CI_CI
		.amdhsa_group_segment_fixed_size 65536
		.amdhsa_private_segment_fixed_size 156
		.amdhsa_kernarg_size 104
		.amdhsa_user_sgpr_count 2
		.amdhsa_user_sgpr_dispatch_ptr 0
		.amdhsa_user_sgpr_queue_ptr 0
		.amdhsa_user_sgpr_kernarg_segment_ptr 1
		.amdhsa_user_sgpr_dispatch_id 0
		.amdhsa_user_sgpr_private_segment_size 0
		.amdhsa_wavefront_size32 1
		.amdhsa_uses_dynamic_stack 0
		.amdhsa_enable_private_segment 1
		.amdhsa_system_sgpr_workgroup_id_x 1
		.amdhsa_system_sgpr_workgroup_id_y 0
		.amdhsa_system_sgpr_workgroup_id_z 0
		.amdhsa_system_sgpr_workgroup_info 0
		.amdhsa_system_vgpr_workitem_id 0
		.amdhsa_next_free_vgpr 256
		.amdhsa_next_free_sgpr 22
		.amdhsa_reserve_vcc 1
		.amdhsa_float_round_mode_32 0
		.amdhsa_float_round_mode_16_64 0
		.amdhsa_float_denorm_mode_32 3
		.amdhsa_float_denorm_mode_16_64 3
		.amdhsa_fp16_overflow 0
		.amdhsa_workgroup_processor_mode 1
		.amdhsa_memory_ordered 1
		.amdhsa_forward_progress 0
		.amdhsa_round_robin_scheduling 0
		.amdhsa_exception_fp_ieee_invalid_op 0
		.amdhsa_exception_fp_denorm_src 0
		.amdhsa_exception_fp_ieee_div_zero 0
		.amdhsa_exception_fp_ieee_overflow 0
		.amdhsa_exception_fp_ieee_underflow 0
		.amdhsa_exception_fp_ieee_inexact 0
		.amdhsa_exception_int_div_zero 0
	.end_amdhsa_kernel
	.text
.Lfunc_end0:
	.size	bluestein_single_fwd_len4096_dim1_dp_op_CI_CI, .Lfunc_end0-bluestein_single_fwd_len4096_dim1_dp_op_CI_CI
                                        ; -- End function
	.section	.AMDGPU.csdata,"",@progbits
; Kernel info:
; codeLenInByte = 15936
; NumSgprs: 24
; NumVgprs: 256
; ScratchSize: 156
; MemoryBound: 0
; FloatMode: 240
; IeeeMode: 1
; LDSByteSize: 65536 bytes/workgroup (compile time only)
; SGPRBlocks: 2
; VGPRBlocks: 31
; NumSGPRsForWavesPerEU: 24
; NumVGPRsForWavesPerEU: 256
; Occupancy: 4
; WaveLimiterHint : 1
; COMPUTE_PGM_RSRC2:SCRATCH_EN: 1
; COMPUTE_PGM_RSRC2:USER_SGPR: 2
; COMPUTE_PGM_RSRC2:TRAP_HANDLER: 0
; COMPUTE_PGM_RSRC2:TGID_X_EN: 1
; COMPUTE_PGM_RSRC2:TGID_Y_EN: 0
; COMPUTE_PGM_RSRC2:TGID_Z_EN: 0
; COMPUTE_PGM_RSRC2:TIDIG_COMP_CNT: 0
	.text
	.p2alignl 7, 3214868480
	.fill 96, 4, 3214868480
	.type	__hip_cuid_7bc97df14d39a5f2,@object ; @__hip_cuid_7bc97df14d39a5f2
	.section	.bss,"aw",@nobits
	.globl	__hip_cuid_7bc97df14d39a5f2
__hip_cuid_7bc97df14d39a5f2:
	.byte	0                               ; 0x0
	.size	__hip_cuid_7bc97df14d39a5f2, 1

	.ident	"AMD clang version 19.0.0git (https://github.com/RadeonOpenCompute/llvm-project roc-6.4.0 25133 c7fe45cf4b819c5991fe208aaa96edf142730f1d)"
	.section	".note.GNU-stack","",@progbits
	.addrsig
	.addrsig_sym __hip_cuid_7bc97df14d39a5f2
	.amdgpu_metadata
---
amdhsa.kernels:
  - .args:
      - .actual_access:  read_only
        .address_space:  global
        .offset:         0
        .size:           8
        .value_kind:     global_buffer
      - .actual_access:  read_only
        .address_space:  global
        .offset:         8
        .size:           8
        .value_kind:     global_buffer
      - .actual_access:  read_only
        .address_space:  global
        .offset:         16
        .size:           8
        .value_kind:     global_buffer
      - .actual_access:  read_only
        .address_space:  global
        .offset:         24
        .size:           8
        .value_kind:     global_buffer
      - .actual_access:  read_only
        .address_space:  global
        .offset:         32
        .size:           8
        .value_kind:     global_buffer
      - .offset:         40
        .size:           8
        .value_kind:     by_value
      - .address_space:  global
        .offset:         48
        .size:           8
        .value_kind:     global_buffer
      - .address_space:  global
        .offset:         56
        .size:           8
        .value_kind:     global_buffer
      - .address_space:  global
        .offset:         64
        .size:           8
        .value_kind:     global_buffer
      - .address_space:  global
        .offset:         72
        .size:           8
        .value_kind:     global_buffer
      - .offset:         80
        .size:           4
        .value_kind:     by_value
      - .address_space:  global
        .offset:         88
        .size:           8
        .value_kind:     global_buffer
      - .address_space:  global
        .offset:         96
        .size:           8
        .value_kind:     global_buffer
    .group_segment_fixed_size: 65536
    .kernarg_segment_align: 8
    .kernarg_segment_size: 104
    .language:       OpenCL C
    .language_version:
      - 2
      - 0
    .max_flat_workgroup_size: 256
    .name:           bluestein_single_fwd_len4096_dim1_dp_op_CI_CI
    .private_segment_fixed_size: 156
    .sgpr_count:     24
    .sgpr_spill_count: 0
    .symbol:         bluestein_single_fwd_len4096_dim1_dp_op_CI_CI.kd
    .uniform_work_group_size: 1
    .uses_dynamic_stack: false
    .vgpr_count:     256
    .vgpr_spill_count: 38
    .wavefront_size: 32
    .workgroup_processor_mode: 1
amdhsa.target:   amdgcn-amd-amdhsa--gfx1201
amdhsa.version:
  - 1
  - 2
...

	.end_amdgpu_metadata
